;; amdgpu-corpus repo=ROCm/rocFFT kind=compiled arch=gfx1201 opt=O3
	.text
	.amdgcn_target "amdgcn-amd-amdhsa--gfx1201"
	.amdhsa_code_object_version 6
	.protected	fft_rtc_fwd_len1820_factors_10_13_7_2_wgs_182_tpt_182_halfLds_dp_ip_CI_unitstride_sbrr_R2C_dirReg ; -- Begin function fft_rtc_fwd_len1820_factors_10_13_7_2_wgs_182_tpt_182_halfLds_dp_ip_CI_unitstride_sbrr_R2C_dirReg
	.globl	fft_rtc_fwd_len1820_factors_10_13_7_2_wgs_182_tpt_182_halfLds_dp_ip_CI_unitstride_sbrr_R2C_dirReg
	.p2align	8
	.type	fft_rtc_fwd_len1820_factors_10_13_7_2_wgs_182_tpt_182_halfLds_dp_ip_CI_unitstride_sbrr_R2C_dirReg,@function
fft_rtc_fwd_len1820_factors_10_13_7_2_wgs_182_tpt_182_halfLds_dp_ip_CI_unitstride_sbrr_R2C_dirReg: ; @fft_rtc_fwd_len1820_factors_10_13_7_2_wgs_182_tpt_182_halfLds_dp_ip_CI_unitstride_sbrr_R2C_dirReg
; %bb.0:
	s_clause 0x2
	s_load_b128 s[4:7], s[0:1], 0x0
	s_load_b64 s[8:9], s[0:1], 0x50
	s_load_b64 s[10:11], s[0:1], 0x18
	v_mul_u32_u24_e32 v1, 0x169, v0
	v_mov_b32_e32 v3, 0
	s_delay_alu instid0(VALU_DEP_2) | instskip(NEXT) | instid1(VALU_DEP_1)
	v_lshrrev_b32_e32 v1, 16, v1
	v_add_nc_u32_e32 v5, ttmp9, v1
	v_mov_b32_e32 v1, 0
	v_mov_b32_e32 v2, 0
	;; [unrolled: 1-line block ×3, first 2 shown]
	s_wait_kmcnt 0x0
	v_cmp_lt_u64_e64 s2, s[6:7], 2
	s_delay_alu instid0(VALU_DEP_1)
	s_and_b32 vcc_lo, exec_lo, s2
	s_cbranch_vccnz .LBB0_8
; %bb.1:
	s_load_b64 s[2:3], s[0:1], 0x10
	v_mov_b32_e32 v1, 0
	v_mov_b32_e32 v2, 0
	s_add_nc_u64 s[12:13], s[10:11], 8
	s_mov_b64 s[14:15], 1
	s_wait_kmcnt 0x0
	s_add_nc_u64 s[16:17], s[2:3], 8
	s_mov_b32 s3, 0
.LBB0_2:                                ; =>This Inner Loop Header: Depth=1
	s_load_b64 s[18:19], s[16:17], 0x0
                                        ; implicit-def: $vgpr7_vgpr8
	s_mov_b32 s2, exec_lo
	s_wait_kmcnt 0x0
	v_or_b32_e32 v4, s19, v6
	s_delay_alu instid0(VALU_DEP_1)
	v_cmpx_ne_u64_e32 0, v[3:4]
	s_wait_alu 0xfffe
	s_xor_b32 s20, exec_lo, s2
	s_cbranch_execz .LBB0_4
; %bb.3:                                ;   in Loop: Header=BB0_2 Depth=1
	s_cvt_f32_u32 s2, s18
	s_cvt_f32_u32 s21, s19
	s_sub_nc_u64 s[24:25], 0, s[18:19]
	s_wait_alu 0xfffe
	s_delay_alu instid0(SALU_CYCLE_1) | instskip(SKIP_1) | instid1(SALU_CYCLE_2)
	s_fmamk_f32 s2, s21, 0x4f800000, s2
	s_wait_alu 0xfffe
	v_s_rcp_f32 s2, s2
	s_delay_alu instid0(TRANS32_DEP_1) | instskip(SKIP_1) | instid1(SALU_CYCLE_2)
	s_mul_f32 s2, s2, 0x5f7ffffc
	s_wait_alu 0xfffe
	s_mul_f32 s21, s2, 0x2f800000
	s_wait_alu 0xfffe
	s_delay_alu instid0(SALU_CYCLE_2) | instskip(SKIP_1) | instid1(SALU_CYCLE_2)
	s_trunc_f32 s21, s21
	s_wait_alu 0xfffe
	s_fmamk_f32 s2, s21, 0xcf800000, s2
	s_cvt_u32_f32 s23, s21
	s_wait_alu 0xfffe
	s_delay_alu instid0(SALU_CYCLE_1) | instskip(SKIP_1) | instid1(SALU_CYCLE_2)
	s_cvt_u32_f32 s22, s2
	s_wait_alu 0xfffe
	s_mul_u64 s[26:27], s[24:25], s[22:23]
	s_wait_alu 0xfffe
	s_mul_hi_u32 s29, s22, s27
	s_mul_i32 s28, s22, s27
	s_mul_hi_u32 s2, s22, s26
	s_mul_i32 s30, s23, s26
	s_wait_alu 0xfffe
	s_add_nc_u64 s[28:29], s[2:3], s[28:29]
	s_mul_hi_u32 s21, s23, s26
	s_mul_hi_u32 s31, s23, s27
	s_add_co_u32 s2, s28, s30
	s_wait_alu 0xfffe
	s_add_co_ci_u32 s2, s29, s21
	s_mul_i32 s26, s23, s27
	s_add_co_ci_u32 s27, s31, 0
	s_wait_alu 0xfffe
	s_add_nc_u64 s[26:27], s[2:3], s[26:27]
	s_wait_alu 0xfffe
	v_add_co_u32 v4, s2, s22, s26
	s_delay_alu instid0(VALU_DEP_1) | instskip(SKIP_1) | instid1(VALU_DEP_1)
	s_cmp_lg_u32 s2, 0
	s_add_co_ci_u32 s23, s23, s27
	v_readfirstlane_b32 s22, v4
	s_wait_alu 0xfffe
	s_delay_alu instid0(VALU_DEP_1)
	s_mul_u64 s[24:25], s[24:25], s[22:23]
	s_wait_alu 0xfffe
	s_mul_hi_u32 s27, s22, s25
	s_mul_i32 s26, s22, s25
	s_mul_hi_u32 s2, s22, s24
	s_mul_i32 s28, s23, s24
	s_wait_alu 0xfffe
	s_add_nc_u64 s[26:27], s[2:3], s[26:27]
	s_mul_hi_u32 s21, s23, s24
	s_mul_hi_u32 s22, s23, s25
	s_wait_alu 0xfffe
	s_add_co_u32 s2, s26, s28
	s_add_co_ci_u32 s2, s27, s21
	s_mul_i32 s24, s23, s25
	s_add_co_ci_u32 s25, s22, 0
	s_wait_alu 0xfffe
	s_add_nc_u64 s[24:25], s[2:3], s[24:25]
	s_wait_alu 0xfffe
	v_add_co_u32 v4, s2, v4, s24
	s_delay_alu instid0(VALU_DEP_1) | instskip(SKIP_1) | instid1(VALU_DEP_1)
	s_cmp_lg_u32 s2, 0
	s_add_co_ci_u32 s2, s23, s25
	v_mul_hi_u32 v13, v5, v4
	s_wait_alu 0xfffe
	v_mad_co_u64_u32 v[7:8], null, v5, s2, 0
	v_mad_co_u64_u32 v[9:10], null, v6, v4, 0
	;; [unrolled: 1-line block ×3, first 2 shown]
	s_delay_alu instid0(VALU_DEP_3) | instskip(SKIP_1) | instid1(VALU_DEP_4)
	v_add_co_u32 v4, vcc_lo, v13, v7
	s_wait_alu 0xfffd
	v_add_co_ci_u32_e32 v7, vcc_lo, 0, v8, vcc_lo
	s_delay_alu instid0(VALU_DEP_2) | instskip(SKIP_1) | instid1(VALU_DEP_2)
	v_add_co_u32 v4, vcc_lo, v4, v9
	s_wait_alu 0xfffd
	v_add_co_ci_u32_e32 v4, vcc_lo, v7, v10, vcc_lo
	s_wait_alu 0xfffd
	v_add_co_ci_u32_e32 v7, vcc_lo, 0, v12, vcc_lo
	s_delay_alu instid0(VALU_DEP_2) | instskip(SKIP_1) | instid1(VALU_DEP_2)
	v_add_co_u32 v4, vcc_lo, v4, v11
	s_wait_alu 0xfffd
	v_add_co_ci_u32_e32 v9, vcc_lo, 0, v7, vcc_lo
	s_delay_alu instid0(VALU_DEP_2) | instskip(SKIP_1) | instid1(VALU_DEP_3)
	v_mul_lo_u32 v10, s19, v4
	v_mad_co_u64_u32 v[7:8], null, s18, v4, 0
	v_mul_lo_u32 v11, s18, v9
	s_delay_alu instid0(VALU_DEP_2) | instskip(NEXT) | instid1(VALU_DEP_2)
	v_sub_co_u32 v7, vcc_lo, v5, v7
	v_add3_u32 v8, v8, v11, v10
	s_delay_alu instid0(VALU_DEP_1) | instskip(SKIP_1) | instid1(VALU_DEP_1)
	v_sub_nc_u32_e32 v10, v6, v8
	s_wait_alu 0xfffd
	v_subrev_co_ci_u32_e64 v10, s2, s19, v10, vcc_lo
	v_add_co_u32 v11, s2, v4, 2
	s_wait_alu 0xf1ff
	v_add_co_ci_u32_e64 v12, s2, 0, v9, s2
	v_sub_co_u32 v13, s2, v7, s18
	v_sub_co_ci_u32_e32 v8, vcc_lo, v6, v8, vcc_lo
	s_wait_alu 0xf1ff
	v_subrev_co_ci_u32_e64 v10, s2, 0, v10, s2
	s_delay_alu instid0(VALU_DEP_3) | instskip(NEXT) | instid1(VALU_DEP_3)
	v_cmp_le_u32_e32 vcc_lo, s18, v13
	v_cmp_eq_u32_e64 s2, s19, v8
	s_wait_alu 0xfffd
	v_cndmask_b32_e64 v13, 0, -1, vcc_lo
	v_cmp_le_u32_e32 vcc_lo, s19, v10
	s_wait_alu 0xfffd
	v_cndmask_b32_e64 v14, 0, -1, vcc_lo
	v_cmp_le_u32_e32 vcc_lo, s18, v7
	;; [unrolled: 3-line block ×3, first 2 shown]
	s_wait_alu 0xfffd
	v_cndmask_b32_e64 v15, 0, -1, vcc_lo
	v_cmp_eq_u32_e32 vcc_lo, s19, v10
	s_wait_alu 0xf1ff
	s_delay_alu instid0(VALU_DEP_2)
	v_cndmask_b32_e64 v7, v15, v7, s2
	s_wait_alu 0xfffd
	v_cndmask_b32_e32 v10, v14, v13, vcc_lo
	v_add_co_u32 v13, vcc_lo, v4, 1
	s_wait_alu 0xfffd
	v_add_co_ci_u32_e32 v14, vcc_lo, 0, v9, vcc_lo
	s_delay_alu instid0(VALU_DEP_3) | instskip(SKIP_2) | instid1(VALU_DEP_3)
	v_cmp_ne_u32_e32 vcc_lo, 0, v10
	s_wait_alu 0xfffd
	v_cndmask_b32_e32 v10, v13, v11, vcc_lo
	v_cndmask_b32_e32 v8, v14, v12, vcc_lo
	v_cmp_ne_u32_e32 vcc_lo, 0, v7
	s_wait_alu 0xfffd
	s_delay_alu instid0(VALU_DEP_2)
	v_dual_cndmask_b32 v7, v4, v10 :: v_dual_cndmask_b32 v8, v9, v8
.LBB0_4:                                ;   in Loop: Header=BB0_2 Depth=1
	s_wait_alu 0xfffe
	s_and_not1_saveexec_b32 s2, s20
	s_cbranch_execz .LBB0_6
; %bb.5:                                ;   in Loop: Header=BB0_2 Depth=1
	v_cvt_f32_u32_e32 v4, s18
	s_sub_co_i32 s20, 0, s18
	s_delay_alu instid0(VALU_DEP_1) | instskip(NEXT) | instid1(TRANS32_DEP_1)
	v_rcp_iflag_f32_e32 v4, v4
	v_mul_f32_e32 v4, 0x4f7ffffe, v4
	s_delay_alu instid0(VALU_DEP_1) | instskip(SKIP_1) | instid1(VALU_DEP_1)
	v_cvt_u32_f32_e32 v4, v4
	s_wait_alu 0xfffe
	v_mul_lo_u32 v7, s20, v4
	s_delay_alu instid0(VALU_DEP_1) | instskip(NEXT) | instid1(VALU_DEP_1)
	v_mul_hi_u32 v7, v4, v7
	v_add_nc_u32_e32 v4, v4, v7
	s_delay_alu instid0(VALU_DEP_1) | instskip(NEXT) | instid1(VALU_DEP_1)
	v_mul_hi_u32 v4, v5, v4
	v_mul_lo_u32 v7, v4, s18
	v_add_nc_u32_e32 v8, 1, v4
	s_delay_alu instid0(VALU_DEP_2) | instskip(NEXT) | instid1(VALU_DEP_1)
	v_sub_nc_u32_e32 v7, v5, v7
	v_subrev_nc_u32_e32 v9, s18, v7
	v_cmp_le_u32_e32 vcc_lo, s18, v7
	s_wait_alu 0xfffd
	s_delay_alu instid0(VALU_DEP_2) | instskip(NEXT) | instid1(VALU_DEP_1)
	v_dual_cndmask_b32 v7, v7, v9 :: v_dual_cndmask_b32 v4, v4, v8
	v_cmp_le_u32_e32 vcc_lo, s18, v7
	s_delay_alu instid0(VALU_DEP_2) | instskip(SKIP_1) | instid1(VALU_DEP_1)
	v_add_nc_u32_e32 v8, 1, v4
	s_wait_alu 0xfffd
	v_dual_cndmask_b32 v7, v4, v8 :: v_dual_mov_b32 v8, v3
.LBB0_6:                                ;   in Loop: Header=BB0_2 Depth=1
	s_wait_alu 0xfffe
	s_or_b32 exec_lo, exec_lo, s2
	s_load_b64 s[20:21], s[12:13], 0x0
	s_delay_alu instid0(VALU_DEP_1)
	v_mul_lo_u32 v4, v8, s18
	v_mul_lo_u32 v11, v7, s19
	v_mad_co_u64_u32 v[9:10], null, v7, s18, 0
	s_add_nc_u64 s[14:15], s[14:15], 1
	s_add_nc_u64 s[12:13], s[12:13], 8
	s_wait_alu 0xfffe
	v_cmp_ge_u64_e64 s2, s[14:15], s[6:7]
	s_add_nc_u64 s[16:17], s[16:17], 8
	s_delay_alu instid0(VALU_DEP_2) | instskip(NEXT) | instid1(VALU_DEP_3)
	v_add3_u32 v4, v10, v11, v4
	v_sub_co_u32 v5, vcc_lo, v5, v9
	s_wait_alu 0xfffd
	s_delay_alu instid0(VALU_DEP_2) | instskip(SKIP_3) | instid1(VALU_DEP_2)
	v_sub_co_ci_u32_e32 v4, vcc_lo, v6, v4, vcc_lo
	s_and_b32 vcc_lo, exec_lo, s2
	s_wait_kmcnt 0x0
	v_mul_lo_u32 v6, s21, v5
	v_mul_lo_u32 v4, s20, v4
	v_mad_co_u64_u32 v[1:2], null, s20, v5, v[1:2]
	s_delay_alu instid0(VALU_DEP_1)
	v_add3_u32 v2, v6, v2, v4
	s_wait_alu 0xfffe
	s_cbranch_vccnz .LBB0_9
; %bb.7:                                ;   in Loop: Header=BB0_2 Depth=1
	v_dual_mov_b32 v5, v7 :: v_dual_mov_b32 v6, v8
	s_branch .LBB0_2
.LBB0_8:
	v_dual_mov_b32 v8, v6 :: v_dual_mov_b32 v7, v5
.LBB0_9:
	s_lshl_b64 s[2:3], s[6:7], 3
	v_mul_hi_u32 v3, 0x1681682, v0
	s_wait_alu 0xfffe
	s_add_nc_u64 s[2:3], s[10:11], s[2:3]
	s_load_b64 s[2:3], s[2:3], 0x0
	s_load_b64 s[0:1], s[0:1], 0x20
	s_delay_alu instid0(VALU_DEP_1) | instskip(NEXT) | instid1(VALU_DEP_1)
	v_mul_u32_u24_e32 v3, 0xb6, v3
	v_sub_nc_u32_e32 v68, v0, v3
	s_delay_alu instid0(VALU_DEP_1)
	v_lshl_add_u32 v248, v68, 4, 0
	s_wait_kmcnt 0x0
	v_mul_lo_u32 v4, s2, v8
	v_mul_lo_u32 v5, s3, v7
	v_mad_co_u64_u32 v[1:2], null, s2, v7, v[1:2]
	v_cmp_gt_u64_e32 vcc_lo, s[0:1], v[7:8]
	s_delay_alu instid0(VALU_DEP_2) | instskip(NEXT) | instid1(VALU_DEP_1)
	v_add3_u32 v2, v5, v2, v4
	v_lshlrev_b64_e32 v[0:1], 4, v[1:2]
	scratch_store_b64 off, v[0:1], off      ; 8-byte Folded Spill
	s_and_saveexec_b32 s1, vcc_lo
	s_cbranch_execz .LBB0_11
; %bb.10:
	scratch_load_b64 v[2:3], off, off       ; 8-byte Folded Reload
	v_mov_b32_e32 v69, 0
	s_delay_alu instid0(VALU_DEP_1) | instskip(SKIP_4) | instid1(VALU_DEP_2)
	v_lshlrev_b64_e32 v[0:1], 4, v[68:69]
	s_wait_loadcnt 0x0
	v_add_co_u32 v2, s0, s8, v2
	s_wait_alu 0xf1ff
	v_add_co_ci_u32_e64 v3, s0, s9, v3, s0
	v_add_co_u32 v36, s0, v2, v0
	s_wait_alu 0xf1ff
	s_delay_alu instid0(VALU_DEP_2)
	v_add_co_ci_u32_e64 v37, s0, v3, v1, s0
	s_clause 0x9
	global_load_b128 v[0:3], v[36:37], off
	global_load_b128 v[4:7], v[36:37], off offset:2912
	global_load_b128 v[8:11], v[36:37], off offset:5824
	global_load_b128 v[12:15], v[36:37], off offset:8736
	global_load_b128 v[16:19], v[36:37], off offset:11648
	global_load_b128 v[20:23], v[36:37], off offset:14560
	global_load_b128 v[24:27], v[36:37], off offset:17472
	global_load_b128 v[28:31], v[36:37], off offset:20384
	global_load_b128 v[32:35], v[36:37], off offset:23296
	global_load_b128 v[36:39], v[36:37], off offset:26208
	s_wait_loadcnt 0x9
	ds_store_b128 v248, v[0:3]
	s_wait_loadcnt 0x8
	ds_store_b128 v248, v[4:7] offset:2912
	s_wait_loadcnt 0x7
	ds_store_b128 v248, v[8:11] offset:5824
	;; [unrolled: 2-line block ×9, first 2 shown]
.LBB0_11:
	s_wait_alu 0xfffe
	s_or_b32 exec_lo, exec_lo, s1
	global_wb scope:SCOPE_SE
	s_wait_storecnt_dscnt 0x0
	s_barrier_signal -1
	s_barrier_wait -1
	global_inv scope:SCOPE_SE
	ds_load_b128 v[0:3], v248 offset:14560
	ds_load_b128 v[4:7], v248 offset:20384
	;; [unrolled: 1-line block ×9, first 2 shown]
	ds_load_b128 v[36:39], v248
	s_mov_b32 s2, 0x134454ff
	s_mov_b32 s3, 0x3fee6f0e
	;; [unrolled: 1-line block ×3, first 2 shown]
	s_wait_alu 0xfffe
	s_mov_b32 s0, s2
	s_mov_b32 s6, 0x4755a5e
	;; [unrolled: 1-line block ×4, first 2 shown]
	s_wait_alu 0xfffe
	s_mov_b32 s10, s6
	s_mov_b32 s12, 0x372fe950
	;; [unrolled: 1-line block ×5, first 2 shown]
	s_wait_dscnt 0x8
	v_add_f64_e32 v[40:41], v[0:1], v[4:5]
	v_add_f64_e32 v[46:47], v[2:3], v[6:7]
	s_wait_dscnt 0x6
	v_add_f64_e32 v[42:43], v[14:15], v[10:11]
	v_add_f64_e32 v[44:45], v[12:13], v[8:9]
	v_add_f64_e64 v[48:49], v[14:15], -v[10:11]
	v_add_f64_e64 v[50:51], v[2:3], -v[6:7]
	;; [unrolled: 1-line block ×4, first 2 shown]
	s_wait_dscnt 0x3
	v_add_f64_e32 v[56:57], v[20:21], v[24:25]
	s_wait_dscnt 0x2
	v_add_f64_e32 v[58:59], v[16:17], v[28:29]
	v_add_f64_e32 v[60:61], v[22:23], v[26:27]
	;; [unrolled: 1-line block ×3, first 2 shown]
	v_add_f64_e64 v[64:65], v[12:13], -v[0:1]
	v_add_f64_e64 v[66:67], v[8:9], -v[4:5]
	;; [unrolled: 1-line block ×8, first 2 shown]
	s_wait_dscnt 0x1
	v_add_f64_e32 v[12:13], v[32:33], v[12:13]
	v_add_f64_e32 v[14:15], v[34:35], v[14:15]
	v_add_f64_e64 v[92:93], v[18:19], -v[30:31]
	v_add_f64_e64 v[94:95], v[22:23], -v[26:27]
	;; [unrolled: 1-line block ×4, first 2 shown]
	global_wb scope:SCOPE_SE
	s_wait_dscnt 0x0
	s_barrier_signal -1
	s_barrier_wait -1
	global_inv scope:SCOPE_SE
	v_fma_f64 v[40:41], v[40:41], -0.5, v[32:33]
	v_fma_f64 v[46:47], v[46:47], -0.5, v[34:35]
	;; [unrolled: 1-line block ×4, first 2 shown]
	v_add_f64_e32 v[32:33], v[36:37], v[16:17]
	v_add_f64_e32 v[34:35], v[38:39], v[18:19]
	v_fma_f64 v[56:57], v[56:57], -0.5, v[36:37]
	v_fma_f64 v[36:37], v[58:59], -0.5, v[36:37]
	;; [unrolled: 1-line block ×4, first 2 shown]
	v_add_f64_e32 v[60:61], v[64:65], v[66:67]
	v_add_f64_e32 v[62:63], v[72:73], v[74:75]
	v_add_f64_e32 v[64:65], v[76:77], v[78:79]
	v_add_f64_e64 v[76:77], v[28:29], -v[24:25]
	v_add_f64_e64 v[78:79], v[24:25], -v[28:29]
	v_add_f64_e32 v[0:1], v[12:13], v[0:1]
	v_add_f64_e32 v[2:3], v[14:15], v[2:3]
	v_fma_f64 v[82:83], v[48:49], s[2:3], v[40:41]
	v_fma_f64 v[40:41], v[48:49], s[0:1], v[40:41]
	;; [unrolled: 1-line block ×11, first 2 shown]
	v_add_f64_e32 v[0:1], v[0:1], v[4:5]
	v_add_f64_e32 v[2:3], v[2:3], v[6:7]
	v_fma_f64 v[66:67], v[50:51], s[6:7], v[82:83]
	v_fma_f64 v[40:41], v[50:51], s[10:11], v[40:41]
	;; [unrolled: 1-line block ×4, first 2 shown]
	v_add_f64_e32 v[50:51], v[80:81], v[88:89]
	v_fma_f64 v[44:45], v[48:49], s[6:7], v[44:45]
	v_fma_f64 v[42:43], v[54:55], s[6:7], v[42:43]
	;; [unrolled: 1-line block ×3, first 2 shown]
	v_add_f64_e64 v[54:55], v[16:17], -v[20:21]
	v_add_f64_e64 v[16:17], v[20:21], -v[16:17]
	;; [unrolled: 1-line block ×6, first 2 shown]
	v_add_f64_e32 v[20:21], v[32:33], v[20:21]
	v_add_f64_e32 v[22:23], v[34:35], v[22:23]
	v_fma_f64 v[32:33], v[94:95], s[0:1], v[36:37]
	v_fma_f64 v[34:35], v[94:95], s[2:3], v[36:37]
	;; [unrolled: 1-line block ×8, first 2 shown]
	v_add_f64_e32 v[8:9], v[0:1], v[8:9]
	v_add_f64_e32 v[10:11], v[2:3], v[10:11]
	v_fma_f64 v[52:53], v[60:61], s[12:13], v[66:67]
	v_fma_f64 v[40:41], v[60:61], s[12:13], v[40:41]
	;; [unrolled: 1-line block ×7, first 2 shown]
	v_add_f64_e32 v[54:55], v[54:55], v[76:77]
	v_add_f64_e32 v[16:17], v[16:17], v[78:79]
	;; [unrolled: 1-line block ×6, first 2 shown]
	v_fma_f64 v[12:13], v[92:93], s[6:7], v[32:33]
	v_fma_f64 v[14:15], v[92:93], s[10:11], v[34:35]
	;; [unrolled: 1-line block ×7, first 2 shown]
	s_wait_alu 0xfffe
	v_mul_f64_e32 v[38:39], s[14:15], v[52:53]
	v_mul_f64_e32 v[56:57], s[14:15], v[40:41]
	;; [unrolled: 1-line block ×8, first 2 shown]
	v_fma_f64 v[4:5], v[54:55], s[12:13], v[4:5]
	v_fma_f64 v[6:7], v[54:55], s[12:13], v[6:7]
	v_add_f64_e32 v[20:21], v[20:21], v[28:29]
	v_add_f64_e32 v[22:23], v[22:23], v[30:31]
	v_fma_f64 v[74:75], v[16:17], s[12:13], v[12:13]
	v_fma_f64 v[16:17], v[16:17], s[12:13], v[14:15]
	v_fma_f64 v[76:77], v[60:61], s[12:13], v[24:25]
	v_fma_f64 v[26:27], v[60:61], s[12:13], v[26:27]
	v_fma_f64 v[60:61], v[18:19], s[12:13], v[32:33]
	v_fma_f64 v[18:19], v[18:19], s[12:13], v[34:35]
	v_fma_f64 v[24:25], v[36:37], s[6:7], v[38:39]
	v_fma_f64 v[38:39], v[44:45], s[12:13], v[46:47]
	v_fma_f64 v[42:43], v[42:43], s[2:3], -v[50:51]
	v_fma_f64 v[44:45], v[48:49], s[6:7], -v[56:57]
	v_fma_f64 v[36:37], v[36:37], s[14:15], v[52:53]
	v_fma_f64 v[46:47], v[66:67], s[12:13], v[58:59]
	v_fma_f64 v[48:49], v[72:73], s[0:1], -v[62:63]
	v_fma_f64 v[40:41], v[40:41], s[10:11], -v[64:65]
	v_cmp_gt_u32_e64 s0, 0x8c, v68
                                        ; implicit-def: $vgpr66_vgpr67
                                        ; implicit-def: $vgpr62_vgpr63
                                        ; implicit-def: $vgpr58_vgpr59
	v_add_f64_e32 v[0:1], v[20:21], v[8:9]
	v_add_f64_e32 v[2:3], v[22:23], v[10:11]
	v_add_f64_e64 v[12:13], v[20:21], -v[8:9]
	v_add_f64_e64 v[14:15], v[22:23], -v[10:11]
	v_add_f64_e32 v[52:53], v[4:5], v[24:25]
	v_add_f64_e64 v[4:5], v[4:5], -v[24:25]
	v_add_f64_e32 v[32:33], v[74:75], v[38:39]
	v_add_f64_e32 v[28:29], v[16:17], v[42:43]
	v_add_f64_e32 v[20:21], v[6:7], v[44:45]
	v_add_f64_e32 v[54:55], v[76:77], v[36:37]
	v_add_f64_e32 v[34:35], v[60:61], v[46:47]
	v_add_f64_e32 v[30:31], v[18:19], v[48:49]
	v_add_f64_e32 v[22:23], v[26:27], v[40:41]
	v_add_f64_e64 v[8:9], v[74:75], -v[38:39]
	v_add_f64_e64 v[16:17], v[16:17], -v[42:43]
	;; [unrolled: 1-line block ×7, first 2 shown]
	v_mad_u32_u24 v36, 0x90, v68, v248
	ds_store_b128 v36, v[0:3]
	ds_store_b128 v36, v[52:55] offset:16
	ds_store_b128 v36, v[32:35] offset:32
	;; [unrolled: 1-line block ×9, first 2 shown]
	global_wb scope:SCOPE_SE
	s_wait_dscnt 0x0
	s_barrier_signal -1
	s_barrier_wait -1
	global_inv scope:SCOPE_SE
	s_and_saveexec_b32 s1, s0
	s_cbranch_execz .LBB0_13
; %bb.12:
	ds_load_b128 v[0:3], v248
	ds_load_b128 v[52:55], v248 offset:2240
	ds_load_b128 v[32:35], v248 offset:4480
	;; [unrolled: 1-line block ×12, first 2 shown]
.LBB0_13:
	s_wait_alu 0xfffe
	s_or_b32 exec_lo, exec_lo, s1
	v_and_b32_e32 v36, 0xff, v68
	s_mov_b32 s20, 0x42a4c3d2
	s_mov_b32 s19, 0xbfddbe06
	s_mov_b32 s18, 0x4267c47c
	s_mov_b32 s21, 0xbfea55e2
	v_mul_lo_u16 v36, 0xcd, v36
	s_mov_b32 s2, 0xe00740e9
	s_mov_b32 s26, 0x66966769
	;; [unrolled: 1-line block ×4, first 2 shown]
	v_lshrrev_b16 v69, 11, v36
	s_mov_b32 s3, 0x3fec55a7
	s_mov_b32 s27, 0xbfefc445
	s_mov_b32 s7, 0x3fe22d96
	s_mov_b32 s23, 0xbfedeba7
	v_mul_lo_u16 v36, v69, 10
	s_mov_b32 s12, 0xebaa3ed8
	s_mov_b32 s10, 0xb2365da1
	;; [unrolled: 1-line block ×4, first 2 shown]
	v_sub_nc_u16 v36, v68, v36
	s_mov_b32 s11, 0xbfd6b1d8
	s_mov_b32 s25, 0xbfcea1e5
	;; [unrolled: 1-line block ×4, first 2 shown]
	v_and_b32_e32 v249, 0xff, v36
	s_mov_b32 s29, 0xbfe5384d
	s_mov_b32 s15, 0xbfef11f4
	;; [unrolled: 1-line block ×4, first 2 shown]
	v_mul_u32_u24_e32 v36, 12, v249
	s_mov_b32 s16, s28
	s_wait_alu 0xfffe
	s_mov_b32 s30, s22
	s_delay_alu instid0(VALU_DEP_1)
	v_lshlrev_b32_e32 v36, 4, v36
	s_clause 0xb
	global_load_b128 v[74:77], v36, s[4:5]
	global_load_b128 v[78:81], v36, s[4:5] offset:176
	global_load_b128 v[82:85], v36, s[4:5] offset:16
	;; [unrolled: 1-line block ×11, first 2 shown]
	s_wait_loadcnt_dscnt 0xb0b
	v_mul_f64_e32 v[72:73], v[52:53], v[76:77]
	s_wait_loadcnt_dscnt 0xa00
	v_mul_f64_e32 v[98:99], v[64:65], v[80:81]
	v_mul_f64_e32 v[76:77], v[54:55], v[76:77]
	;; [unrolled: 1-line block ×3, first 2 shown]
	s_wait_loadcnt 0x9
	v_mul_f64_e32 v[108:109], v[34:35], v[84:85]
	v_mul_f64_e32 v[84:85], v[32:33], v[84:85]
	s_wait_loadcnt 0x8
	v_mul_f64_e32 v[110:111], v[60:61], v[88:89]
	v_mul_f64_e32 v[88:89], v[62:63], v[88:89]
	;; [unrolled: 3-line block ×3, first 2 shown]
	v_fma_f64 v[72:73], v[54:55], v[74:75], v[72:73]
	v_fma_f64 v[54:55], v[66:67], v[78:79], v[98:99]
	v_fma_f64 v[74:75], v[52:53], v[74:75], -v[76:77]
	v_fma_f64 v[52:53], v[64:65], v[78:79], -v[80:81]
	v_mul_f64_e32 v[66:67], v[30:31], v[92:93]
	v_mul_f64_e32 v[76:77], v[28:29], v[92:93]
	;; [unrolled: 1-line block ×4, first 2 shown]
	v_fma_f64 v[64:65], v[34:35], v[82:83], v[84:85]
	v_fma_f64 v[34:35], v[62:63], v[86:87], v[110:111]
	v_fma_f64 v[62:63], v[32:33], v[82:83], -v[108:109]
	v_fma_f64 v[32:33], v[60:61], v[86:87], -v[88:89]
	v_mul_f64_e32 v[82:83], v[22:23], v[102:103]
	v_mul_f64_e32 v[84:85], v[20:21], v[102:103]
	;; [unrolled: 1-line block ×8, first 2 shown]
	v_add_f64_e64 v[186:187], v[72:73], -v[54:55]
	v_add_f64_e32 v[96:97], v[72:73], v[54:55]
	v_add_f64_e64 v[182:183], v[74:75], -v[52:53]
	v_fma_f64 v[60:61], v[28:29], v[90:91], -v[66:67]
	v_fma_f64 v[66:67], v[30:31], v[90:91], v[76:77]
	v_fma_f64 v[28:29], v[58:59], v[94:95], v[78:79]
	v_fma_f64 v[30:31], v[56:57], v[94:95], -v[80:81]
	v_add_f64_e32 v[90:91], v[74:75], v[52:53]
	v_add_f64_e64 v[204:205], v[64:65], -v[34:35]
	v_mul_f64_e32 v[94:95], v[14:15], v[50:51]
	v_add_f64_e64 v[202:203], v[62:63], -v[32:33]
	v_fma_f64 v[56:57], v[20:21], v[100:101], -v[82:83]
	v_fma_f64 v[58:59], v[22:23], v[100:101], v[84:85]
	v_fma_f64 v[50:51], v[26:27], v[104:105], v[86:87]
	v_fma_f64 v[46:47], v[24:25], v[104:105], -v[92:93]
	v_add_f64_e32 v[76:77], v[62:63], v[32:33]
	v_add_f64_e32 v[80:81], v[64:65], v[34:35]
	v_mul_f64_e32 v[104:105], v[6:7], v[42:43]
	v_fma_f64 v[38:39], v[16:17], v[44:45], -v[106:107]
	v_fma_f64 v[42:43], v[18:19], v[44:45], v[108:109]
	v_mul_f64_e32 v[88:89], s[18:19], v[186:187]
	v_mul_f64_e32 v[136:137], s[20:21], v[186:187]
	;; [unrolled: 1-line block ×5, first 2 shown]
	v_add_f64_e64 v[20:21], v[66:67], -v[28:29]
	v_add_f64_e64 v[232:233], v[60:61], -v[30:31]
	v_mul_f64_e32 v[166:167], s[26:27], v[182:183]
	v_mul_f64_e32 v[70:71], s[20:21], v[204:205]
	;; [unrolled: 1-line block ×5, first 2 shown]
	v_fma_f64 v[84:85], v[12:13], v[48:49], -v[94:95]
	v_fma_f64 v[48:49], v[14:15], v[48:49], v[102:103]
	v_add_f64_e64 v[234:235], v[58:59], -v[50:51]
	v_add_f64_e64 v[250:251], v[56:57], -v[46:47]
	v_add_f64_e32 v[44:45], v[60:61], v[30:31]
	v_add_f64_e32 v[92:93], v[66:67], v[28:29]
	v_mul_f64_e32 v[118:119], s[24:25], v[204:205]
	v_mul_f64_e32 v[120:121], s[24:25], v[202:203]
	;; [unrolled: 1-line block ×4, first 2 shown]
	v_fma_f64 v[102:103], v[6:7], v[40:41], v[110:111]
	v_add_f64_e32 v[108:109], v[58:59], v[50:51]
	v_mul_f64_e32 v[228:229], s[28:29], v[186:187]
	v_mul_f64_e32 v[230:231], s[28:29], v[182:183]
	;; [unrolled: 1-line block ×4, first 2 shown]
	s_mov_b32 s19, 0x3fddbe06
	v_fma_f64 v[22:23], v[90:91], s[2:3], v[88:89]
	v_fma_f64 v[26:27], v[90:91], s[6:7], v[136:137]
	v_fma_f64 v[24:25], v[96:97], s[2:3], -v[98:99]
	v_fma_f64 v[100:101], v[96:97], s[6:7], -v[142:143]
	v_mul_f64_e32 v[86:87], s[26:27], v[20:21]
	v_mul_f64_e32 v[94:95], s[26:27], v[232:233]
	;; [unrolled: 1-line block ×4, first 2 shown]
	v_fma_f64 v[12:13], v[76:77], s[6:7], v[70:71]
	v_fma_f64 v[16:17], v[80:81], s[6:7], -v[78:79]
	v_fma_f64 v[132:133], v[76:77], s[10:11], v[112:113]
	v_fma_f64 v[134:135], v[80:81], s[10:11], -v[114:115]
	v_add_f64_e64 v[6:7], v[84:85], -v[38:39]
	v_mul_f64_e32 v[106:107], s[22:23], v[234:235]
	v_mul_f64_e32 v[110:111], s[22:23], v[250:251]
	;; [unrolled: 1-line block ×4, first 2 shown]
	s_mov_b32 s16, 0xd0032e0c
	s_mov_b32 s17, 0xbfe7f3cc
	v_fma_f64 v[150:151], v[90:91], s[10:11], v[222:223]
	v_fma_f64 v[162:163], v[96:97], s[10:11], -v[226:227]
	s_wait_alu 0xfffe
	v_mul_f64_e32 v[174:175], s[18:19], v[234:235]
	v_mul_f64_e32 v[176:177], s[18:19], v[250:251]
	;; [unrolled: 1-line block ×3, first 2 shown]
	v_fma_f64 v[196:197], v[90:91], s[16:17], v[228:229]
	v_mul_f64_e32 v[170:171], s[18:19], v[232:233]
	v_fma_f64 v[198:199], v[96:97], s[16:17], -v[230:231]
	v_fma_f64 v[200:201], v[76:77], s[16:17], v[156:157]
	v_fma_f64 v[208:209], v[80:81], s[16:17], -v[158:159]
	v_mul_f64_e32 v[172:173], s[26:27], v[234:235]
	v_mul_f64_e32 v[164:165], s[20:21], v[232:233]
	s_clause 0x1
	scratch_store_b64 off, v[70:71], off offset:8
	scratch_store_b64 off, v[78:79], off offset:16
	global_wb scope:SCOPE_SE
	s_wait_storecnt 0x0
	s_barrier_signal -1
	s_barrier_wait -1
	global_inv scope:SCOPE_SE
	v_add_f64_e32 v[14:15], v[0:1], v[22:23]
	v_fma_f64 v[22:23], v[90:91], s[12:13], v[160:161]
	v_add_f64_e32 v[18:19], v[2:3], v[24:25]
	v_fma_f64 v[24:25], v[96:97], s[12:13], -v[166:167]
	v_add_f64_e32 v[26:27], v[0:1], v[26:27]
	v_add_f64_e32 v[138:139], v[2:3], v[100:101]
	v_fma_f64 v[100:101], v[4:5], v[40:41], -v[104:105]
	v_fma_f64 v[40:41], v[8:9], v[36:37], -v[124:125]
	v_fma_f64 v[36:37], v[10:11], v[36:37], v[126:127]
	v_add_f64_e32 v[104:105], v[56:57], v[46:47]
	v_add_f64_e64 v[4:5], v[48:49], -v[42:43]
	v_mul_f64_e32 v[124:125], s[30:31], v[20:21]
	v_mul_f64_e32 v[126:127], s[30:31], v[232:233]
	v_fma_f64 v[8:9], v[44:45], s[12:13], v[86:87]
	v_fma_f64 v[144:145], v[44:45], s[14:15], v[116:117]
	v_fma_f64 v[146:147], v[92:93], s[14:15], -v[122:123]
	s_mov_b32 s31, 0x3fefc445
	s_mov_b32 s30, s26
	v_mul_f64_e32 v[140:141], s[28:29], v[6:7]
	s_wait_alu 0xfffe
	v_mul_f64_e32 v[188:189], s[30:31], v[6:7]
	v_mul_f64_e32 v[152:153], s[30:31], v[204:205]
	;; [unrolled: 1-line block ×3, first 2 shown]
	v_fma_f64 v[190:191], v[108:109], s[16:17], -v[130:131]
	v_add_f64_e32 v[206:207], v[0:1], v[150:151]
	v_add_f64_e32 v[210:211], v[2:3], v[162:163]
	v_mul_f64_e32 v[192:193], s[20:21], v[6:7]
	v_mul_f64_e32 v[162:163], s[20:21], v[20:21]
	v_add_f64_e32 v[236:237], v[0:1], v[196:197]
	v_add_f64_e32 v[240:241], v[2:3], v[198:199]
	v_fma_f64 v[242:243], v[44:45], s[2:3], v[168:169]
	v_mul_f64_e32 v[196:197], s[26:27], v[250:251]
	s_mov_b32 s27, 0x3fcea1e5
	s_mov_b32 s26, s24
	s_wait_alu 0xfffe
	v_mul_f64_e32 v[198:199], s[26:27], v[6:7]
	v_add_f64_e32 v[10:11], v[12:13], v[14:15]
	v_fma_f64 v[12:13], v[92:93], s[12:13], -v[94:95]
	v_add_f64_e32 v[14:15], v[16:17], v[18:19]
	v_fma_f64 v[16:17], v[76:77], s[14:15], v[118:119]
	v_add_f64_e32 v[18:19], v[0:1], v[22:23]
	v_fma_f64 v[22:23], v[80:81], s[14:15], -v[120:121]
	v_add_f64_e32 v[24:25], v[2:3], v[24:25]
	v_add_f64_e32 v[26:27], v[132:133], v[26:27]
	;; [unrolled: 1-line block ×5, first 2 shown]
	v_add_f64_e64 v[252:253], v[102:103], -v[36:37]
	v_add_f64_e64 v[254:255], v[100:101], -v[40:41]
	v_mul_f64_e32 v[134:135], s[28:29], v[4:5]
	v_mul_f64_e32 v[180:181], s[30:31], v[4:5]
	v_fma_f64 v[178:179], v[104:105], s[10:11], v[106:107]
	v_mul_f64_e32 v[184:185], s[20:21], v[4:5]
	v_fma_f64 v[78:79], v[104:105], s[12:13], v[172:173]
	s_mov_b32 s21, 0x3fea55e2
	v_fma_f64 v[224:225], v[76:77], s[12:13], v[152:153]
	v_fma_f64 v[238:239], v[80:81], s[12:13], -v[154:155]
	v_add_f64_e32 v[200:201], v[200:201], v[206:207]
	v_fma_f64 v[206:207], v[92:93], s[2:3], -v[170:171]
	v_add_f64_e32 v[210:211], v[208:209], v[210:211]
	;; [unrolled: 2-line block ×4, first 2 shown]
	v_fma_f64 v[14:15], v[44:45], s[10:11], v[124:125]
	v_add_f64_e32 v[16:17], v[16:17], v[18:19]
	v_fma_f64 v[18:19], v[92:93], s[10:11], -v[126:127]
	v_add_f64_e32 v[22:23], v[22:23], v[24:25]
	v_fma_f64 v[24:25], v[104:105], s[16:17], v[128:129]
	v_add_f64_e32 v[26:27], v[144:145], v[26:27]
	v_add_f64_e32 v[194:195], v[146:147], v[148:149]
	;; [unrolled: 1-line block ×4, first 2 shown]
	v_mul_f64_e32 v[146:147], s[24:25], v[252:253]
	v_mul_f64_e32 v[150:151], s[24:25], v[254:255]
	;; [unrolled: 1-line block ×4, first 2 shown]
	v_fma_f64 v[212:213], v[132:133], s[16:17], v[134:135]
	v_fma_f64 v[218:219], v[138:139], s[16:17], -v[140:141]
	v_mul_f64_e32 v[208:209], s[28:29], v[252:253]
	v_mul_f64_e32 v[214:215], s[28:29], v[254:255]
	v_add_f64_e32 v[224:225], v[224:225], v[236:237]
	v_fma_f64 v[236:237], v[44:45], s[6:7], v[162:163]
	v_add_f64_e32 v[238:239], v[238:239], v[240:241]
	v_fma_f64 v[240:241], v[92:93], s[6:7], -v[164:165]
	v_add_f64_e32 v[242:243], v[242:243], v[200:201]
	v_add_f64_e32 v[210:211], v[206:207], v[210:211]
	v_mul_f64_e32 v[200:201], s[18:19], v[4:5]
	v_mul_f64_e32 v[206:207], s[18:19], v[6:7]
	v_add_f64_e32 v[8:9], v[178:179], v[8:9]
	v_mul_f64_e32 v[178:179], s[26:27], v[234:235]
	v_add_f64_e32 v[10:11], v[10:11], v[12:13]
	v_fma_f64 v[12:13], v[104:105], s[2:3], v[174:175]
	v_add_f64_e32 v[14:15], v[14:15], v[16:17]
	v_fma_f64 v[16:17], v[108:109], s[2:3], -v[176:177]
	v_add_f64_e32 v[18:19], v[18:19], v[22:23]
	v_fma_f64 v[22:23], v[132:133], s[12:13], v[180:181]
	v_add_f64_e32 v[24:25], v[24:25], v[26:27]
	v_fma_f64 v[26:27], v[138:139], s[12:13], -v[188:189]
	v_add_f64_e32 v[190:191], v[190:191], v[194:195]
	v_mul_f64_e32 v[194:195], s[26:27], v[4:5]
	v_fma_f64 v[244:245], v[144:145], s[14:15], v[146:147]
	v_fma_f64 v[70:71], v[144:145], s[2:3], v[216:217]
	v_add_f64_e32 v[78:79], v[78:79], v[242:243]
	v_add_f64_e32 v[82:83], v[82:83], v[210:211]
	v_mul_f64_e32 v[210:211], s[22:23], v[252:253]
	v_mul_f64_e32 v[242:243], s[18:19], v[202:203]
	;; [unrolled: 1-line block ×3, first 2 shown]
	v_add_f64_e32 v[8:9], v[212:213], v[8:9]
	v_fma_f64 v[212:213], v[148:149], s[14:15], -v[150:151]
	v_add_f64_e32 v[10:11], v[218:219], v[10:11]
	v_fma_f64 v[218:219], v[132:133], s[6:7], v[184:185]
	v_add_f64_e32 v[12:13], v[12:13], v[14:15]
	v_fma_f64 v[14:15], v[138:139], s[6:7], -v[192:193]
	v_add_f64_e32 v[246:247], v[16:17], v[18:19]
	v_add_f64_e32 v[22:23], v[22:23], v[24:25]
	v_fma_f64 v[24:25], v[148:149], s[2:3], -v[220:221]
	v_add_f64_e32 v[26:27], v[26:27], v[190:191]
	v_mul_f64_e32 v[190:191], s[26:27], v[250:251]
	v_add_f64_e32 v[16:17], v[244:245], v[8:9]
	v_fma_f64 v[244:245], v[148:149], s[16:17], -v[214:215]
	v_add_f64_e32 v[18:19], v[212:213], v[10:11]
	s_wait_alu 0xfffe
	v_mul_f64_e32 v[212:213], s[20:21], v[252:253]
	v_add_f64_e32 v[12:13], v[218:219], v[12:13]
	v_fma_f64 v[218:219], v[144:145], s[16:17], v[208:209]
	v_add_f64_e32 v[14:15], v[14:15], v[246:247]
	v_mul_f64_e32 v[246:247], s[24:25], v[182:183]
	v_add_f64_e32 v[8:9], v[70:71], v[22:23]
	v_fma_f64 v[22:23], v[104:105], s[14:15], v[178:179]
	v_add_f64_e32 v[10:11], v[24:25], v[26:27]
	v_add_f64_e32 v[24:25], v[236:237], v[224:225]
	v_fma_f64 v[26:27], v[108:109], s[14:15], -v[190:191]
	v_add_f64_e32 v[70:71], v[240:241], v[238:239]
	v_fma_f64 v[236:237], v[132:133], s[14:15], v[194:195]
	v_fma_f64 v[238:239], v[138:139], s[14:15], -v[198:199]
	v_mul_f64_e32 v[224:225], s[20:21], v[254:255]
	v_fma_f64 v[182:183], v[144:145], s[10:11], v[210:211]
	v_add_f64_e32 v[12:13], v[218:219], v[12:13]
	v_add_f64_e32 v[14:15], v[244:245], v[14:15]
	v_mul_f64_e32 v[218:219], s[22:23], v[254:255]
	v_mul_f64_e32 v[244:245], s[24:25], v[186:187]
	v_add_f64_e32 v[22:23], v[22:23], v[24:25]
	v_fma_f64 v[24:25], v[132:133], s[2:3], v[200:201]
	v_add_f64_e32 v[26:27], v[26:27], v[70:71]
	v_fma_f64 v[70:71], v[138:139], s[2:3], -v[206:207]
	v_add_f64_e32 v[78:79], v[236:237], v[78:79]
	v_fma_f64 v[236:237], v[144:145], s[6:7], v[212:213]
	v_add_f64_e32 v[82:83], v[238:239], v[82:83]
	v_fma_f64 v[240:241], v[148:149], s[6:7], -v[224:225]
	v_mul_f64_e32 v[238:239], s[18:19], v[204:205]
	v_mul_f64_e32 v[204:205], s[22:23], v[6:7]
	v_fma_f64 v[6:7], v[132:133], s[10:11], v[202:203]
	v_fma_f64 v[186:187], v[148:149], s[10:11], -v[218:219]
	v_add_f64_e32 v[22:23], v[24:25], v[22:23]
	v_add_f64_e32 v[70:71], v[70:71], v[26:27]
	;; [unrolled: 1-line block ×3, first 2 shown]
	v_fma_f64 v[78:79], v[90:91], s[14:15], v[244:245]
	v_add_f64_e32 v[26:27], v[240:241], v[82:83]
	v_fma_f64 v[82:83], v[96:97], s[14:15], -v[246:247]
	v_mul_f64_e32 v[236:237], s[28:29], v[20:21]
	v_mul_f64_e32 v[240:241], s[28:29], v[232:233]
	v_mul_f64_e32 v[232:233], s[20:21], v[234:235]
	v_mul_f64_e32 v[234:235], s[20:21], v[250:251]
	v_add_f64_e32 v[20:21], v[182:183], v[22:23]
	v_fma_f64 v[182:183], v[80:81], s[2:3], -v[242:243]
	v_add_f64_e32 v[22:23], v[186:187], v[70:71]
	v_fma_f64 v[70:71], v[76:77], s[2:3], v[238:239]
	v_mul_f64_e32 v[186:187], s[30:31], v[254:255]
	v_add_f64_e32 v[78:79], v[0:1], v[78:79]
	v_add_f64_e32 v[82:83], v[2:3], v[82:83]
	s_delay_alu instid0(VALU_DEP_2) | instskip(SKIP_1) | instid1(VALU_DEP_3)
	v_add_f64_e32 v[70:71], v[70:71], v[78:79]
	v_fma_f64 v[78:79], v[44:45], s[16:17], v[236:237]
	v_add_f64_e32 v[82:83], v[182:183], v[82:83]
	v_fma_f64 v[182:183], v[92:93], s[16:17], -v[240:241]
	s_delay_alu instid0(VALU_DEP_3) | instskip(SKIP_1) | instid1(VALU_DEP_3)
	v_add_f64_e32 v[4:5], v[78:79], v[70:71]
	v_fma_f64 v[70:71], v[104:105], s[6:7], v[232:233]
	v_add_f64_e32 v[78:79], v[182:183], v[82:83]
	v_fma_f64 v[82:83], v[108:109], s[6:7], -v[234:235]
	v_mul_f64_e32 v[182:183], s[30:31], v[252:253]
	s_delay_alu instid0(VALU_DEP_4) | instskip(NEXT) | instid1(VALU_DEP_3)
	v_add_f64_e32 v[4:5], v[70:71], v[4:5]
	v_add_f64_e32 v[70:71], v[82:83], v[78:79]
	v_fma_f64 v[78:79], v[138:139], s[10:11], -v[204:205]
	s_delay_alu instid0(VALU_DEP_3) | instskip(SKIP_1) | instid1(VALU_DEP_3)
	v_add_f64_e32 v[4:5], v[6:7], v[4:5]
	v_fma_f64 v[6:7], v[144:145], s[12:13], v[182:183]
	v_add_f64_e32 v[70:71], v[78:79], v[70:71]
	v_fma_f64 v[78:79], v[148:149], s[12:13], -v[186:187]
	s_delay_alu instid0(VALU_DEP_3) | instskip(NEXT) | instid1(VALU_DEP_2)
	v_add_f64_e32 v[4:5], v[6:7], v[4:5]
	v_add_f64_e32 v[6:7], v[78:79], v[70:71]
	s_and_saveexec_b32 s1, s0
	s_cbranch_execz .LBB0_15
; %bb.14:
	v_mul_f64_e32 v[82:83], s[16:17], v[96:97]
	v_mul_f64_e32 v[70:71], s[14:15], v[96:97]
	;; [unrolled: 1-line block ×3, first 2 shown]
	s_delay_alu instid0(VALU_DEP_3) | instskip(SKIP_1) | instid1(VALU_DEP_4)
	v_add_f64_e32 v[82:83], v[230:231], v[82:83]
	v_mul_f64_e32 v[230:231], s[10:11], v[96:97]
	v_add_f64_e32 v[70:71], v[246:247], v[70:71]
	s_delay_alu instid0(VALU_DEP_4) | instskip(SKIP_1) | instid1(VALU_DEP_4)
	v_add_f64_e64 v[78:79], v[78:79], -v[244:245]
	v_add_f64_e32 v[244:245], v[0:1], v[74:75]
	v_add_f64_e32 v[226:227], v[226:227], v[230:231]
	v_mul_f64_e32 v[230:231], s[10:11], v[90:91]
	v_add_f64_e32 v[70:71], v[2:3], v[70:71]
	s_delay_alu instid0(VALU_DEP_4) | instskip(NEXT) | instid1(VALU_DEP_3)
	v_add_f64_e32 v[62:63], v[244:245], v[62:63]
	v_add_f64_e64 v[222:223], v[230:231], -v[222:223]
	v_mul_f64_e32 v[230:231], s[12:13], v[96:97]
	s_delay_alu instid0(VALU_DEP_3) | instskip(NEXT) | instid1(VALU_DEP_2)
	v_add_f64_e32 v[60:61], v[62:63], v[60:61]
	v_add_f64_e32 v[166:167], v[166:167], v[230:231]
	v_mul_f64_e32 v[230:231], s[12:13], v[90:91]
	s_delay_alu instid0(VALU_DEP_3) | instskip(NEXT) | instid1(VALU_DEP_2)
	v_add_f64_e32 v[56:57], v[60:61], v[56:57]
	v_add_f64_e64 v[160:161], v[230:231], -v[160:161]
	v_mul_f64_e32 v[230:231], s[6:7], v[96:97]
	v_mul_f64_e32 v[96:97], s[2:3], v[96:97]
	s_delay_alu instid0(VALU_DEP_2) | instskip(SKIP_1) | instid1(VALU_DEP_3)
	v_add_f64_e32 v[142:143], v[142:143], v[230:231]
	v_mul_f64_e32 v[230:231], s[6:7], v[90:91]
	v_add_f64_e32 v[96:97], v[98:99], v[96:97]
	s_delay_alu instid0(VALU_DEP_3) | instskip(NEXT) | instid1(VALU_DEP_3)
	v_add_f64_e32 v[74:75], v[2:3], v[142:143]
	v_add_f64_e64 v[136:137], v[230:231], -v[136:137]
	v_mul_f64_e32 v[230:231], s[16:17], v[90:91]
	v_mul_f64_e32 v[90:91], s[2:3], v[90:91]
	v_add_f64_e32 v[142:143], v[0:1], v[222:223]
	s_delay_alu instid0(VALU_DEP_4) | instskip(NEXT) | instid1(VALU_DEP_4)
	v_add_f64_e32 v[98:99], v[0:1], v[136:137]
	v_add_f64_e64 v[228:229], v[230:231], -v[228:229]
	s_delay_alu instid0(VALU_DEP_4)
	v_add_f64_e64 v[88:89], v[90:91], -v[88:89]
	v_add_f64_e32 v[230:231], v[2:3], v[72:73]
	v_add_f64_e32 v[72:73], v[0:1], v[78:79]
	;; [unrolled: 1-line block ×7, first 2 shown]
	v_mul_f64_e32 v[2:3], s[2:3], v[76:77]
	v_mul_f64_e32 v[96:97], s[16:17], v[44:45]
	v_mul_f64_e32 v[226:227], s[6:7], v[108:109]
	v_add_f64_e32 v[160:161], v[0:1], v[228:229]
	v_add_f64_e32 v[222:223], v[0:1], v[88:89]
	v_mul_f64_e32 v[0:1], s[2:3], v[80:81]
	v_mul_f64_e32 v[88:89], s[16:17], v[92:93]
	;; [unrolled: 1-line block ×3, first 2 shown]
	v_add_f64_e64 v[2:3], v[2:3], -v[238:239]
	v_add_f64_e64 v[96:97], v[96:97], -v[236:237]
	v_add_f64_e32 v[226:227], v[234:235], v[226:227]
	v_add_f64_e32 v[0:1], v[242:243], v[0:1]
	;; [unrolled: 1-line block ×3, first 2 shown]
	v_add_f64_e64 v[228:229], v[228:229], -v[232:233]
	v_mul_f64_e32 v[232:233], s[10:11], v[138:139]
	v_add_f64_e32 v[2:3], v[2:3], v[72:73]
	v_mul_f64_e32 v[72:73], s[12:13], v[148:149]
	v_add_f64_e32 v[0:1], v[0:1], v[70:71]
	;; [unrolled: 2-line block ×3, first 2 shown]
	v_add_f64_e32 v[2:3], v[96:97], v[2:3]
	v_add_f64_e32 v[72:73], v[186:187], v[72:73]
	v_mul_f64_e32 v[96:97], s[14:15], v[44:45]
	v_add_f64_e32 v[0:1], v[88:89], v[0:1]
	v_add_f64_e64 v[70:71], v[70:71], -v[202:203]
	v_mul_f64_e32 v[88:89], s[12:13], v[144:145]
	v_add_f64_e32 v[2:3], v[228:229], v[2:3]
	v_add_f64_e64 v[96:97], v[96:97], -v[116:117]
	;; [unrolled: 3-line block ×3, first 2 shown]
	v_add_f64_e32 v[70:71], v[70:71], v[2:3]
	s_delay_alu instid0(VALU_DEP_4) | instskip(NEXT) | instid1(VALU_DEP_4)
	v_add_f64_e32 v[116:117], v[188:189], v[116:117]
	v_add_f64_e32 v[0:1], v[204:205], v[0:1]
	s_delay_alu instid0(VALU_DEP_1) | instskip(NEXT) | instid1(VALU_DEP_4)
	v_add_f64_e32 v[2:3], v[72:73], v[0:1]
	v_add_f64_e32 v[0:1], v[88:89], v[70:71]
	v_mul_f64_e32 v[70:71], s[10:11], v[80:81]
	v_mul_f64_e32 v[72:73], s[10:11], v[76:77]
	;; [unrolled: 1-line block ×3, first 2 shown]
	s_delay_alu instid0(VALU_DEP_3) | instskip(NEXT) | instid1(VALU_DEP_3)
	v_add_f64_e32 v[70:71], v[114:115], v[70:71]
	v_add_f64_e64 v[72:73], v[72:73], -v[112:113]
	s_delay_alu instid0(VALU_DEP_3)
	v_add_f64_e32 v[88:89], v[122:123], v[88:89]
	v_mul_f64_e32 v[112:113], s[16:17], v[108:109]
	v_mul_f64_e32 v[114:115], s[16:17], v[104:105]
	v_add_f64_e32 v[70:71], v[70:71], v[74:75]
	v_add_f64_e32 v[72:73], v[72:73], v[98:99]
	v_mul_f64_e32 v[74:75], s[12:13], v[132:133]
	v_add_f64_e32 v[112:113], v[130:131], v[112:113]
	v_add_f64_e64 v[114:115], v[114:115], -v[128:129]
	v_mul_f64_e32 v[98:99], s[10:11], v[44:45]
	v_add_f64_e32 v[70:71], v[88:89], v[70:71]
	v_add_f64_e32 v[72:73], v[96:97], v[72:73]
	v_mul_f64_e32 v[88:89], s[2:3], v[148:149]
	v_add_f64_e64 v[74:75], v[74:75], -v[180:181]
	v_mul_f64_e32 v[96:97], s[2:3], v[144:145]
	v_add_f64_e64 v[98:99], v[98:99], -v[124:125]
	v_add_f64_e32 v[70:71], v[112:113], v[70:71]
	v_add_f64_e32 v[72:73], v[114:115], v[72:73]
	;; [unrolled: 1-line block ×3, first 2 shown]
	v_mul_f64_e32 v[112:113], s[2:3], v[108:109]
	v_add_f64_e64 v[96:97], v[96:97], -v[216:217]
	v_mul_f64_e32 v[114:115], s[2:3], v[104:105]
	v_add_f64_e32 v[70:71], v[116:117], v[70:71]
	v_add_f64_e32 v[72:73], v[74:75], v[72:73]
	v_mul_f64_e32 v[116:117], s[6:7], v[138:139]
	v_add_f64_e32 v[112:113], v[176:177], v[112:113]
	v_add_f64_e64 v[114:115], v[114:115], -v[174:175]
	v_add_f64_e32 v[74:75], v[88:89], v[70:71]
	v_mul_f64_e32 v[70:71], s[14:15], v[80:81]
	v_add_f64_e32 v[72:73], v[96:97], v[72:73]
	v_mul_f64_e32 v[88:89], s[14:15], v[76:77]
	v_mul_f64_e32 v[96:97], s[10:11], v[92:93]
	v_add_f64_e32 v[116:117], v[192:193], v[116:117]
	v_add_f64_e32 v[70:71], v[120:121], v[70:71]
	v_mul_f64_e32 v[120:121], s[2:3], v[138:139]
	v_add_f64_e64 v[88:89], v[88:89], -v[118:119]
	v_add_f64_e32 v[96:97], v[126:127], v[96:97]
	v_mul_f64_e32 v[118:119], s[14:15], v[138:139]
	v_add_f64_e32 v[70:71], v[70:71], v[90:91]
	v_mul_f64_e32 v[90:91], s[6:7], v[132:133]
	v_add_f64_e32 v[88:89], v[88:89], v[136:137]
	v_add_f64_e32 v[120:121], v[206:207], v[120:121]
	;; [unrolled: 1-line block ×4, first 2 shown]
	v_mul_f64_e32 v[96:97], s[16:17], v[148:149]
	v_add_f64_e32 v[88:89], v[98:99], v[88:89]
	v_add_f64_e64 v[90:91], v[90:91], -v[184:185]
	v_mul_f64_e32 v[98:99], s[16:17], v[144:145]
	v_add_f64_e32 v[70:71], v[112:113], v[70:71]
	v_add_f64_e32 v[96:97], v[214:215], v[96:97]
	;; [unrolled: 1-line block ×3, first 2 shown]
	v_mul_f64_e32 v[112:113], s[2:3], v[44:45]
	v_add_f64_e64 v[98:99], v[98:99], -v[208:209]
	v_mul_f64_e32 v[114:115], s[12:13], v[108:109]
	v_add_f64_e32 v[70:71], v[116:117], v[70:71]
	v_mul_f64_e32 v[116:117], s[12:13], v[104:105]
	v_add_f64_e32 v[88:89], v[90:91], v[88:89]
	v_add_f64_e64 v[112:113], v[112:113], -v[168:169]
	v_add_f64_e32 v[114:115], v[196:197], v[114:115]
	v_add_f64_e32 v[90:91], v[96:97], v[70:71]
	v_mul_f64_e32 v[70:71], s[16:17], v[80:81]
	v_mul_f64_e32 v[96:97], s[16:17], v[76:77]
	v_add_f64_e32 v[88:89], v[98:99], v[88:89]
	v_mul_f64_e32 v[98:99], s[2:3], v[92:93]
	v_add_f64_e64 v[116:117], v[116:117], -v[172:173]
	v_add_f64_e32 v[70:71], v[158:159], v[70:71]
	v_add_f64_e64 v[96:97], v[96:97], -v[156:157]
	s_delay_alu instid0(VALU_DEP_4) | instskip(NEXT) | instid1(VALU_DEP_3)
	v_add_f64_e32 v[98:99], v[170:171], v[98:99]
	v_add_f64_e32 v[70:71], v[70:71], v[82:83]
	s_delay_alu instid0(VALU_DEP_3) | instskip(SKIP_1) | instid1(VALU_DEP_3)
	v_add_f64_e32 v[82:83], v[96:97], v[142:143]
	v_mul_f64_e32 v[96:97], s[14:15], v[132:133]
	v_add_f64_e32 v[70:71], v[98:99], v[70:71]
	s_delay_alu instid0(VALU_DEP_3) | instskip(NEXT) | instid1(VALU_DEP_3)
	v_add_f64_e32 v[82:83], v[112:113], v[82:83]
	v_add_f64_e64 v[96:97], v[96:97], -v[194:195]
	v_mul_f64_e32 v[98:99], s[6:7], v[148:149]
	v_mul_f64_e32 v[112:113], s[6:7], v[144:145]
	v_add_f64_e32 v[70:71], v[114:115], v[70:71]
	v_add_f64_e32 v[82:83], v[116:117], v[82:83]
	v_mul_f64_e32 v[114:115], s[6:7], v[44:45]
	v_add_f64_e32 v[98:99], v[224:225], v[98:99]
	v_add_f64_e64 v[112:113], v[112:113], -v[212:213]
	v_mul_f64_e32 v[116:117], s[14:15], v[108:109]
	v_mul_f64_e32 v[44:45], s[12:13], v[44:45]
	v_add_f64_e32 v[70:71], v[118:119], v[70:71]
	v_add_f64_e32 v[82:83], v[96:97], v[82:83]
	v_add_f64_e64 v[114:115], v[114:115], -v[162:163]
	v_mul_f64_e32 v[118:119], s[14:15], v[104:105]
	v_add_f64_e32 v[116:117], v[190:191], v[116:117]
	v_add_f64_e64 v[44:45], v[44:45], -v[86:87]
	v_mul_f64_e32 v[86:87], s[16:17], v[138:139]
	v_add_f64_e32 v[98:99], v[98:99], v[70:71]
	v_add_f64_e32 v[96:97], v[112:113], v[82:83]
	v_mul_f64_e32 v[70:71], s[12:13], v[80:81]
	v_mul_f64_e32 v[82:83], s[12:13], v[76:77]
	;; [unrolled: 1-line block ×3, first 2 shown]
	v_add_f64_e64 v[118:119], v[118:119], -v[178:179]
	v_mul_f64_e32 v[76:77], s[6:7], v[76:77]
	v_add_f64_e32 v[86:87], v[140:141], v[86:87]
	v_add_f64_e32 v[70:71], v[154:155], v[70:71]
	v_add_f64_e64 v[82:83], v[82:83], -v[152:153]
	v_add_f64_e32 v[112:113], v[164:165], v[112:113]
	s_delay_alu instid0(VALU_DEP_3) | instskip(NEXT) | instid1(VALU_DEP_3)
	v_add_f64_e32 v[70:71], v[70:71], v[78:79]
	v_add_f64_e32 v[78:79], v[82:83], v[160:161]
	v_mul_f64_e32 v[82:83], s[2:3], v[132:133]
	s_delay_alu instid0(VALU_DEP_3) | instskip(NEXT) | instid1(VALU_DEP_3)
	v_add_f64_e32 v[70:71], v[112:113], v[70:71]
	v_add_f64_e32 v[78:79], v[114:115], v[78:79]
	s_delay_alu instid0(VALU_DEP_3) | instskip(SKIP_4) | instid1(VALU_DEP_4)
	v_add_f64_e64 v[82:83], v[82:83], -v[200:201]
	v_mul_f64_e32 v[112:113], s[10:11], v[148:149]
	v_mul_f64_e32 v[114:115], s[10:11], v[144:145]
	v_add_f64_e32 v[70:71], v[116:117], v[70:71]
	v_add_f64_e32 v[78:79], v[118:119], v[78:79]
	;; [unrolled: 1-line block ×3, first 2 shown]
	s_delay_alu instid0(VALU_DEP_4) | instskip(NEXT) | instid1(VALU_DEP_4)
	v_add_f64_e64 v[116:117], v[114:115], -v[210:211]
	v_add_f64_e32 v[70:71], v[120:121], v[70:71]
	s_delay_alu instid0(VALU_DEP_4) | instskip(SKIP_1) | instid1(VALU_DEP_3)
	v_add_f64_e32 v[78:79], v[82:83], v[78:79]
	v_mul_f64_e32 v[82:83], s[10:11], v[104:105]
	v_add_f64_e32 v[114:115], v[112:113], v[70:71]
	s_delay_alu instid0(VALU_DEP_3) | instskip(SKIP_4) | instid1(VALU_DEP_2)
	v_add_f64_e32 v[112:113], v[116:117], v[78:79]
	scratch_load_b64 v[78:79], off, off offset:16 th:TH_LOAD_LU ; 8-byte Folded Reload
	v_mul_f64_e32 v[70:71], s[6:7], v[80:81]
	v_mul_f64_e32 v[80:81], s[10:11], v[108:109]
	v_add_f64_e64 v[82:83], v[82:83], -v[106:107]
	v_add_f64_e32 v[80:81], v[110:111], v[80:81]
	s_wait_loadcnt 0x0
	s_delay_alu instid0(VALU_DEP_4)
	v_add_f64_e32 v[70:71], v[78:79], v[70:71]
	scratch_load_b64 v[78:79], off, off offset:8 th:TH_LOAD_LU ; 8-byte Folded Reload
	v_add_f64_e32 v[70:71], v[70:71], v[166:167]
	s_wait_loadcnt 0x0
	v_add_f64_e64 v[76:77], v[76:77], -v[78:79]
	v_mul_f64_e32 v[78:79], s[12:13], v[92:93]
	v_mul_f64_e32 v[92:93], s[16:17], v[132:133]
	s_delay_alu instid0(VALU_DEP_3) | instskip(NEXT) | instid1(VALU_DEP_3)
	v_add_f64_e32 v[76:77], v[76:77], v[222:223]
	v_add_f64_e32 v[78:79], v[94:95], v[78:79]
	s_delay_alu instid0(VALU_DEP_3) | instskip(NEXT) | instid1(VALU_DEP_3)
	v_add_f64_e64 v[92:93], v[92:93], -v[134:135]
	v_add_f64_e32 v[44:45], v[44:45], v[76:77]
	s_delay_alu instid0(VALU_DEP_3) | instskip(SKIP_2) | instid1(VALU_DEP_4)
	v_add_f64_e32 v[70:71], v[78:79], v[70:71]
	v_mul_f64_e32 v[76:77], s[14:15], v[148:149]
	v_mul_f64_e32 v[78:79], s[14:15], v[144:145]
	v_add_f64_e32 v[44:45], v[82:83], v[44:45]
	s_delay_alu instid0(VALU_DEP_4) | instskip(NEXT) | instid1(VALU_DEP_4)
	v_add_f64_e32 v[70:71], v[80:81], v[70:71]
	v_add_f64_e32 v[76:77], v[150:151], v[76:77]
	s_delay_alu instid0(VALU_DEP_4) | instskip(NEXT) | instid1(VALU_DEP_4)
	v_add_f64_e64 v[80:81], v[78:79], -v[146:147]
	v_add_f64_e32 v[44:45], v[92:93], v[44:45]
	s_delay_alu instid0(VALU_DEP_4) | instskip(NEXT) | instid1(VALU_DEP_1)
	v_add_f64_e32 v[70:71], v[86:87], v[70:71]
	v_add_f64_e32 v[78:79], v[76:77], v[70:71]
	s_delay_alu instid0(VALU_DEP_3) | instskip(SKIP_1) | instid1(VALU_DEP_1)
	v_add_f64_e32 v[76:77], v[80:81], v[44:45]
	v_add_f64_e32 v[44:45], v[230:231], v[64:65]
	v_add_f64_e32 v[44:45], v[44:45], v[66:67]
	s_delay_alu instid0(VALU_DEP_1) | instskip(NEXT) | instid1(VALU_DEP_1)
	v_add_f64_e32 v[44:45], v[44:45], v[58:59]
	v_add_f64_e32 v[44:45], v[44:45], v[48:49]
	;; [unrolled: 1-line block ×3, first 2 shown]
	s_delay_alu instid0(VALU_DEP_2) | instskip(NEXT) | instid1(VALU_DEP_2)
	v_add_f64_e32 v[44:45], v[44:45], v[102:103]
	v_add_f64_e32 v[48:49], v[48:49], v[100:101]
	s_delay_alu instid0(VALU_DEP_2) | instskip(NEXT) | instid1(VALU_DEP_2)
	v_add_f64_e32 v[36:37], v[44:45], v[36:37]
	v_add_f64_e32 v[40:41], v[48:49], v[40:41]
	;; [unrolled: 3-line block ×7, first 2 shown]
	v_and_b32_e32 v32, 0xffff, v69
	v_lshlrev_b32_e32 v33, 4, v249
	s_delay_alu instid0(VALU_DEP_2) | instskip(NEXT) | instid1(VALU_DEP_1)
	v_mul_u32_u24_e32 v32, 0x820, v32
	v_add3_u32 v32, 0, v32, v33
	ds_store_b128 v32, v[72:75] offset:320
	ds_store_b128 v32, v[88:91] offset:480
	;; [unrolled: 1-line block ×11, first 2 shown]
	ds_store_b128 v32, v[28:31]
	ds_store_b128 v32, v[16:19] offset:1920
.LBB0_15:
	s_wait_alu 0xfffe
	s_or_b32 exec_lo, exec_lo, s1
	global_wb scope:SCOPE_SE
	s_wait_dscnt 0x0
	s_barrier_signal -1
	s_barrier_wait -1
	global_inv scope:SCOPE_SE
	ds_load_b128 v[28:31], v248
	ds_load_b128 v[48:51], v248 offset:4160
	ds_load_b128 v[44:47], v248 offset:8320
	;; [unrolled: 1-line block ×6, first 2 shown]
	v_cmp_gt_u32_e64 s0, 0x4e, v68
                                        ; implicit-def: $vgpr2_vgpr3
	s_delay_alu instid0(VALU_DEP_1)
	s_and_saveexec_b32 s1, s0
	s_cbranch_execz .LBB0_17
; %bb.16:
	ds_load_b128 v[4:7], v248 offset:2912
	ds_load_b128 v[20:23], v248 offset:7072
	;; [unrolled: 1-line block ×7, first 2 shown]
.LBB0_17:
	s_wait_alu 0xfffe
	s_or_b32 exec_lo, exec_lo, s1
	v_dual_mov_b32 v57, 0 :: v_dual_add_nc_u32 v56, 0xffffff7e, v68
	v_cmp_gt_u32_e64 s1, 0x82, v68
	s_mov_b32 s6, 0x37e14327
	s_mov_b32 s10, 0xe976ee23
	;; [unrolled: 1-line block ×4, first 2 shown]
	s_wait_alu 0xf1ff
	v_cndmask_b32_e64 v96, v56, v68, s1
	s_mov_b32 s2, 0x429ad128
	s_mov_b32 s3, 0x3febfeb5
	;; [unrolled: 1-line block ×4, first 2 shown]
	v_mul_i32_i24_e32 v56, 6, v96
	s_mov_b32 s12, 0xaaaaaaaa
	s_mov_b32 s20, 0xb247c609
	;; [unrolled: 1-line block ×4, first 2 shown]
	v_lshlrev_b64_e32 v[58:59], 4, v[56:57]
	s_mov_b32 s21, 0x3fd5d0dc
	s_mov_b32 s15, 0x3fe77f67
	;; [unrolled: 1-line block ×4, first 2 shown]
	s_wait_alu 0xfffe
	s_mov_b32 s18, s14
	v_add_co_u32 v66, s1, s4, v58
	s_wait_alu 0xf1ff
	v_add_co_ci_u32_e64 v67, s1, s5, v59, s1
	s_mov_b32 s22, s20
	s_clause 0x5
	global_load_b128 v[58:61], v[66:67], off offset:1920
	global_load_b128 v[62:65], v[66:67], off offset:1936
	;; [unrolled: 1-line block ×6, first 2 shown]
	s_mov_b32 s24, 0x37c3f68c
	s_mov_b32 s25, 0x3fdc38aa
	v_cmp_lt_u32_e64 s1, 0x81, v68
	global_wb scope:SCOPE_SE
	s_wait_loadcnt_dscnt 0x0
	s_barrier_signal -1
	s_barrier_wait -1
	global_inv scope:SCOPE_SE
	s_wait_alu 0xf1ff
	v_cndmask_b32_e64 v56, 0, 0x38e0, s1
	v_mul_f64_e32 v[66:67], v[50:51], v[60:61]
	v_mul_f64_e32 v[60:61], v[48:49], v[60:61]
	;; [unrolled: 1-line block ×12, first 2 shown]
	v_fma_f64 v[48:49], v[48:49], v[58:59], -v[66:67]
	v_fma_f64 v[50:51], v[50:51], v[58:59], v[60:61]
	v_fma_f64 v[44:45], v[44:45], v[62:63], -v[69:70]
	v_fma_f64 v[46:47], v[46:47], v[62:63], v[64:65]
	;; [unrolled: 2-line block ×6, first 2 shown]
	v_add_f64_e32 v[58:59], v[48:49], v[52:53]
	v_add_f64_e32 v[60:61], v[50:51], v[54:55]
	;; [unrolled: 1-line block ×4, first 2 shown]
	v_add_f64_e64 v[40:41], v[44:45], -v[40:41]
	v_add_f64_e64 v[42:43], v[46:47], -v[42:43]
	v_add_f64_e32 v[44:45], v[36:37], v[32:33]
	v_add_f64_e32 v[46:47], v[38:39], v[34:35]
	v_add_f64_e64 v[32:33], v[32:33], -v[36:37]
	v_add_f64_e64 v[34:35], v[34:35], -v[38:39]
	;; [unrolled: 1-line block ×4, first 2 shown]
	v_add_f64_e32 v[48:49], v[62:63], v[58:59]
	v_add_f64_e32 v[50:51], v[64:65], v[60:61]
	v_add_f64_e64 v[52:53], v[58:59], -v[44:45]
	v_add_f64_e64 v[54:55], v[60:61], -v[46:47]
	;; [unrolled: 1-line block ×6, first 2 shown]
	v_add_f64_e32 v[40:41], v[32:33], v[40:41]
	v_add_f64_e32 v[42:43], v[34:35], v[42:43]
	v_add_f64_e64 v[32:33], v[36:37], -v[32:33]
	v_add_f64_e64 v[34:35], v[38:39], -v[34:35]
	;; [unrolled: 1-line block ×4, first 2 shown]
	v_add_f64_e32 v[48:49], v[44:45], v[48:49]
	v_add_f64_e32 v[50:51], v[46:47], v[50:51]
	v_add_f64_e64 v[44:45], v[44:45], -v[62:63]
	v_add_f64_e64 v[46:47], v[46:47], -v[64:65]
	v_mul_f64_e32 v[52:53], s[6:7], v[52:53]
	v_mul_f64_e32 v[54:55], s[6:7], v[54:55]
	;; [unrolled: 1-line block ×6, first 2 shown]
	v_add_f64_e32 v[36:37], v[40:41], v[36:37]
	v_add_f64_e32 v[38:39], v[42:43], v[38:39]
	;; [unrolled: 1-line block ×4, first 2 shown]
	v_mul_f64_e32 v[62:63], s[16:17], v[44:45]
	v_mul_f64_e32 v[64:65], s[16:17], v[46:47]
	v_fma_f64 v[40:41], v[44:45], s[16:17], v[52:53]
	v_fma_f64 v[42:43], v[46:47], s[16:17], v[54:55]
	;; [unrolled: 1-line block ×4, first 2 shown]
	v_fma_f64 v[66:67], v[71:72], s[2:3], -v[66:67]
	v_fma_f64 v[69:70], v[73:74], s[2:3], -v[69:70]
	s_wait_alu 0xfffe
	v_fma_f64 v[32:33], v[32:33], s[22:23], -v[75:76]
	v_fma_f64 v[34:35], v[34:35], s[22:23], -v[77:78]
	;; [unrolled: 1-line block ×4, first 2 shown]
	v_fma_f64 v[48:49], v[48:49], s[12:13], v[28:29]
	v_fma_f64 v[50:51], v[50:51], s[12:13], v[30:31]
	v_fma_f64 v[58:59], v[58:59], s[14:15], -v[62:63]
	v_fma_f64 v[60:61], v[60:61], s[14:15], -v[64:65]
	v_fma_f64 v[62:63], v[36:37], s[24:25], v[44:45]
	v_fma_f64 v[64:65], v[38:39], s[24:25], v[46:47]
	;; [unrolled: 1-line block ×6, first 2 shown]
	v_add_f64_e32 v[71:72], v[40:41], v[48:49]
	v_add_f64_e32 v[73:74], v[42:43], v[50:51]
	;; [unrolled: 1-line block ×6, first 2 shown]
	v_lshlrev_b32_e32 v58, 4, v96
	s_delay_alu instid0(VALU_DEP_1)
	v_add3_u32 v56, 0, v56, v58
	v_add_f64_e32 v[32:33], v[64:65], v[71:72]
	v_add_f64_e64 v[34:35], v[73:74], -v[62:63]
	v_add_f64_e32 v[36:37], v[69:70], v[52:53]
	v_add_f64_e64 v[38:39], v[54:55], -v[66:67]
	v_add_f64_e64 v[40:41], v[48:49], -v[44:45]
	v_add_f64_e32 v[42:43], v[46:47], v[50:51]
	v_add_f64_e32 v[44:45], v[44:45], v[48:49]
	v_add_f64_e64 v[46:47], v[50:51], -v[46:47]
	v_add_f64_e64 v[48:49], v[52:53], -v[69:70]
	v_add_f64_e32 v[50:51], v[66:67], v[54:55]
	v_add_f64_e64 v[52:53], v[71:72], -v[64:65]
	v_add_f64_e32 v[54:55], v[62:63], v[73:74]
	ds_store_b128 v56, v[28:31]
	ds_store_b128 v56, v[32:35] offset:2080
	ds_store_b128 v56, v[36:39] offset:4160
	;; [unrolled: 1-line block ×6, first 2 shown]
	s_and_saveexec_b32 s1, s0
	s_cbranch_execz .LBB0_19
; %bb.18:
	v_add_nc_u32_e32 v28, 0xb6, v68
	s_delay_alu instid0(VALU_DEP_1) | instskip(NEXT) | instid1(VALU_DEP_1)
	v_and_b32_e32 v29, 0xffff, v28
	v_mul_u32_u24_e32 v29, 0xfc1, v29
	s_delay_alu instid0(VALU_DEP_1) | instskip(NEXT) | instid1(VALU_DEP_1)
	v_lshrrev_b32_e32 v29, 19, v29
	v_mul_lo_u16 v29, 0x82, v29
	s_delay_alu instid0(VALU_DEP_1) | instskip(NEXT) | instid1(VALU_DEP_1)
	v_sub_nc_u16 v28, v28, v29
	v_and_b32_e32 v56, 0xffff, v28
	s_delay_alu instid0(VALU_DEP_1) | instskip(NEXT) | instid1(VALU_DEP_1)
	v_mul_u32_u24_e32 v28, 6, v56
	v_lshlrev_b32_e32 v48, 4, v28
	s_clause 0x5
	global_load_b128 v[28:31], v48, s[4:5] offset:1936
	global_load_b128 v[32:35], v48, s[4:5] offset:1984
	;; [unrolled: 1-line block ×6, first 2 shown]
	s_wait_loadcnt 0x5
	v_mul_f64_e32 v[52:53], v[24:25], v[30:31]
	s_wait_loadcnt 0x4
	v_mul_f64_e32 v[54:55], v[16:17], v[34:35]
	;; [unrolled: 2-line block ×4, first 2 shown]
	v_mul_f64_e32 v[30:31], v[26:27], v[30:31]
	v_mul_f64_e32 v[34:35], v[18:19], v[34:35]
	;; [unrolled: 1-line block ×4, first 2 shown]
	s_wait_loadcnt 0x1
	v_mul_f64_e32 v[62:63], v[10:11], v[46:47]
	s_wait_loadcnt 0x0
	v_mul_f64_e32 v[64:65], v[14:15], v[50:51]
	v_mul_f64_e32 v[50:51], v[12:13], v[50:51]
	;; [unrolled: 1-line block ×3, first 2 shown]
	v_fma_f64 v[26:27], v[26:27], v[28:29], v[52:53]
	v_fma_f64 v[18:19], v[18:19], v[32:33], v[54:55]
	;; [unrolled: 1-line block ×4, first 2 shown]
	v_fma_f64 v[24:25], v[24:25], v[28:29], -v[30:31]
	v_fma_f64 v[16:17], v[16:17], v[32:33], -v[34:35]
	;; [unrolled: 1-line block ×6, first 2 shown]
	v_fma_f64 v[14:15], v[14:15], v[48:49], v[50:51]
	v_fma_f64 v[10:11], v[10:11], v[44:45], v[46:47]
	v_add_f64_e32 v[28:29], v[26:27], v[18:19]
	v_add_f64_e32 v[30:31], v[22:23], v[2:3]
	;; [unrolled: 1-line block ×3, first 2 shown]
	v_add_f64_e64 v[16:17], v[24:25], -v[16:17]
	v_add_f64_e32 v[34:35], v[20:21], v[0:1]
	v_add_f64_e64 v[36:37], v[8:9], -v[12:13]
	v_add_f64_e32 v[8:9], v[12:13], v[8:9]
	v_add_f64_e32 v[24:25], v[14:15], v[10:11]
	v_add_f64_e64 v[12:13], v[20:21], -v[0:1]
	v_add_f64_e64 v[10:11], v[10:11], -v[14:15]
	;; [unrolled: 1-line block ×4, first 2 shown]
	v_add_f64_e32 v[0:1], v[28:29], v[30:31]
	v_add_f64_e32 v[2:3], v[32:33], v[34:35]
	v_add_f64_e64 v[20:21], v[36:37], -v[16:17]
	v_add_f64_e64 v[26:27], v[34:35], -v[8:9]
	;; [unrolled: 1-line block ×4, first 2 shown]
	v_add_f64_e32 v[16:17], v[36:37], v[16:17]
	v_add_f64_e64 v[36:37], v[12:13], -v[36:37]
	v_add_f64_e64 v[42:43], v[14:15], -v[18:19]
	v_add_f64_e32 v[40:41], v[24:25], v[0:1]
	v_add_f64_e64 v[24:25], v[24:25], -v[28:29]
	v_add_f64_e64 v[0:1], v[10:11], -v[14:15]
	v_add_f64_e32 v[14:15], v[10:11], v[14:15]
	v_add_f64_e32 v[44:45], v[8:9], v[2:3]
	v_add_f64_e64 v[8:9], v[8:9], -v[32:33]
	v_mul_f64_e32 v[20:21], s[10:11], v[20:21]
	v_mul_f64_e32 v[26:27], s[6:7], v[26:27]
	;; [unrolled: 1-line block ×4, first 2 shown]
	v_add_f64_e64 v[10:11], v[18:19], -v[10:11]
	v_add_f64_e32 v[12:13], v[16:17], v[12:13]
	v_mul_f64_e32 v[48:49], s[2:3], v[42:43]
	v_add_f64_e32 v[2:3], v[6:7], v[40:41]
	v_add_f64_e64 v[6:7], v[28:29], -v[30:31]
	v_mul_f64_e32 v[28:29], s[16:17], v[24:25]
	v_mul_f64_e32 v[30:31], s[10:11], v[0:1]
	v_add_f64_e32 v[0:1], v[4:5], v[44:45]
	v_add_f64_e64 v[4:5], v[32:33], -v[34:35]
	v_mul_f64_e32 v[32:33], s[16:17], v[8:9]
	v_add_f64_e32 v[14:15], v[14:15], v[18:19]
	v_fma_f64 v[16:17], v[36:37], s[20:21], v[20:21]
	v_fma_f64 v[18:19], v[24:25], s[16:17], v[22:23]
	;; [unrolled: 1-line block ×3, first 2 shown]
	v_fma_f64 v[24:25], v[36:37], s[22:23], -v[46:47]
	v_fma_f64 v[20:21], v[38:39], s[2:3], -v[20:21]
	v_fma_f64 v[34:35], v[40:41], s[12:13], v[2:3]
	v_fma_f64 v[22:23], v[6:7], s[18:19], -v[22:23]
	v_fma_f64 v[6:7], v[6:7], s[14:15], -v[28:29]
	v_fma_f64 v[28:29], v[10:11], s[20:21], v[30:31]
	v_fma_f64 v[36:37], v[44:45], s[12:13], v[0:1]
	v_fma_f64 v[10:11], v[10:11], s[22:23], -v[48:49]
	v_fma_f64 v[26:27], v[4:5], s[18:19], -v[26:27]
	;; [unrolled: 1-line block ×4, first 2 shown]
	v_fma_f64 v[16:17], v[12:13], s[24:25], v[16:17]
	v_fma_f64 v[24:25], v[12:13], s[24:25], v[24:25]
	;; [unrolled: 1-line block ×3, first 2 shown]
	v_add_f64_e32 v[20:21], v[18:19], v[34:35]
	v_add_f64_e32 v[22:23], v[22:23], v[34:35]
	;; [unrolled: 1-line block ×3, first 2 shown]
	v_fma_f64 v[28:29], v[14:15], s[24:25], v[28:29]
	v_add_f64_e32 v[34:35], v[8:9], v[36:37]
	v_fma_f64 v[32:33], v[14:15], s[24:25], v[10:11]
	v_add_f64_e32 v[8:9], v[26:27], v[36:37]
	;; [unrolled: 2-line block ×3, first 2 shown]
	v_add_f64_e64 v[26:27], v[20:21], -v[16:17]
	v_add_f64_e32 v[10:11], v[24:25], v[22:23]
	v_add_f64_e64 v[22:23], v[22:23], -v[24:25]
	v_add_f64_e32 v[6:7], v[16:17], v[20:21]
	v_add_f64_e32 v[24:25], v[28:29], v[34:35]
	v_add_f64_e64 v[14:15], v[18:19], -v[12:13]
	v_add_f64_e32 v[20:21], v[32:33], v[8:9]
	;; [unrolled: 3-line block ×3, first 2 shown]
	v_add_f64_e64 v[8:9], v[8:9], -v[32:33]
	v_add_f64_e64 v[4:5], v[34:35], -v[28:29]
	v_lshl_add_u32 v28, v56, 4, 0
	ds_store_b128 v28, v[0:3] offset:14560
	ds_store_b128 v28, v[24:27] offset:16640
	;; [unrolled: 1-line block ×7, first 2 shown]
.LBB0_19:
	s_wait_alu 0xfffe
	s_or_b32 exec_lo, exec_lo, s1
	v_mov_b32_e32 v69, v57
	global_wb scope:SCOPE_SE
	s_wait_dscnt 0x0
	s_barrier_signal -1
	s_barrier_wait -1
	global_inv scope:SCOPE_SE
	v_lshlrev_b64_e32 v[8:9], 4, v[68:69]
	s_delay_alu instid0(VALU_DEP_1) | instskip(SKIP_1) | instid1(VALU_DEP_2)
	v_add_co_u32 v2, s0, s4, v8
	s_wait_alu 0xf1ff
	v_add_co_ci_u32_e64 v3, s0, s5, v9, s0
	v_cmp_ne_u32_e64 s0, 0, v68
	s_clause 0x4
	global_load_b128 v[4:7], v[2:3], off offset:14400
	global_load_b128 v[10:13], v[2:3], off offset:17312
	;; [unrolled: 1-line block ×5, first 2 shown]
	ds_load_b128 v[26:29], v248 offset:14560
	ds_load_b128 v[30:33], v248 offset:17472
	;; [unrolled: 1-line block ×6, first 2 shown]
	s_wait_loadcnt_dscnt 0x405
	v_mul_f64_e32 v[0:1], v[28:29], v[6:7]
	v_mul_f64_e32 v[6:7], v[26:27], v[6:7]
	s_wait_loadcnt_dscnt 0x304
	v_mul_f64_e32 v[50:51], v[32:33], v[12:13]
	v_mul_f64_e32 v[12:13], v[30:31], v[12:13]
	;; [unrolled: 3-line block ×5, first 2 shown]
	v_fma_f64 v[0:1], v[26:27], v[4:5], -v[0:1]
	v_fma_f64 v[26:27], v[28:29], v[4:5], v[6:7]
	v_fma_f64 v[28:29], v[30:31], v[10:11], -v[50:51]
	v_fma_f64 v[30:31], v[32:33], v[10:11], v[12:13]
	;; [unrolled: 2-line block ×5, first 2 shown]
	ds_load_b128 v[4:7], v248
	ds_load_b128 v[10:13], v248 offset:2912
	ds_load_b128 v[14:17], v248 offset:5824
	;; [unrolled: 1-line block ×3, first 2 shown]
	global_wb scope:SCOPE_SE
	s_wait_dscnt 0x0
	s_barrier_signal -1
	s_barrier_wait -1
	global_inv scope:SCOPE_SE
	v_add_f64_e64 v[22:23], v[4:5], -v[0:1]
	v_lshlrev_b32_e32 v0, 4, v68
	v_add_f64_e64 v[24:25], v[6:7], -v[26:27]
	v_add_f64_e64 v[26:27], v[10:11], -v[28:29]
	;; [unrolled: 1-line block ×9, first 2 shown]
	v_fma_f64 v[4:5], v[4:5], 2.0, -v[22:23]
	v_fma_f64 v[6:7], v[6:7], 2.0, -v[24:25]
	;; [unrolled: 1-line block ×10, first 2 shown]
	ds_store_b128 v248, v[26:29] offset:17472
	ds_store_b128 v248, v[30:33] offset:20384
	;; [unrolled: 1-line block ×4, first 2 shown]
	ds_store_b128 v248, v[4:7]
	ds_store_b128 v248, v[10:13] offset:2912
	ds_store_b128 v248, v[14:17] offset:5824
	;; [unrolled: 1-line block ×5, first 2 shown]
	global_wb scope:SCOPE_SE
	s_wait_dscnt 0x0
	s_barrier_signal -1
	s_barrier_wait -1
	global_inv scope:SCOPE_SE
	ds_load_b128 v[4:7], v248
	v_sub_nc_u32_e32 v14, 0, v0
                                        ; implicit-def: $vgpr0_vgpr1
                                        ; implicit-def: $vgpr10_vgpr11
                                        ; implicit-def: $vgpr12_vgpr13
	s_and_saveexec_b32 s1, s0
	s_wait_alu 0xfffe
	s_xor_b32 s0, exec_lo, s1
	s_cbranch_execz .LBB0_21
; %bb.20:
	global_load_b128 v[15:18], v[2:3], off offset:28960
	ds_load_b128 v[0:3], v14 offset:29120
	s_wait_dscnt 0x0
	v_add_f64_e64 v[10:11], v[4:5], -v[0:1]
	v_add_f64_e32 v[12:13], v[6:7], v[2:3]
	v_add_f64_e64 v[2:3], v[6:7], -v[2:3]
	v_add_f64_e32 v[0:1], v[4:5], v[0:1]
	s_delay_alu instid0(VALU_DEP_4) | instskip(NEXT) | instid1(VALU_DEP_4)
	v_mul_f64_e32 v[6:7], 0.5, v[10:11]
	v_mul_f64_e32 v[4:5], 0.5, v[12:13]
	s_delay_alu instid0(VALU_DEP_4) | instskip(SKIP_1) | instid1(VALU_DEP_3)
	v_mul_f64_e32 v[2:3], 0.5, v[2:3]
	s_wait_loadcnt 0x0
	v_mul_f64_e32 v[10:11], v[6:7], v[17:18]
	s_delay_alu instid0(VALU_DEP_2) | instskip(SKIP_1) | instid1(VALU_DEP_3)
	v_fma_f64 v[12:13], v[4:5], v[17:18], v[2:3]
	v_fma_f64 v[2:3], v[4:5], v[17:18], -v[2:3]
	v_fma_f64 v[19:20], v[0:1], 0.5, v[10:11]
	v_fma_f64 v[0:1], v[0:1], 0.5, -v[10:11]
	s_delay_alu instid0(VALU_DEP_4) | instskip(NEXT) | instid1(VALU_DEP_4)
	v_fma_f64 v[12:13], -v[15:16], v[6:7], v[12:13]
	v_fma_f64 v[2:3], -v[15:16], v[6:7], v[2:3]
	s_delay_alu instid0(VALU_DEP_4) | instskip(NEXT) | instid1(VALU_DEP_4)
	v_fma_f64 v[10:11], v[4:5], v[15:16], v[19:20]
	v_fma_f64 v[0:1], -v[4:5], v[15:16], v[0:1]
                                        ; implicit-def: $vgpr4_vgpr5
.LBB0_21:
	s_wait_alu 0xfffe
	s_and_not1_saveexec_b32 s0, s0
	s_cbranch_execz .LBB0_23
; %bb.22:
	s_wait_dscnt 0x0
	v_add_f64_e32 v[10:11], v[4:5], v[6:7]
	v_add_f64_e64 v[0:1], v[4:5], -v[6:7]
	v_mov_b32_e32 v6, 0
	v_mov_b32_e32 v12, 0
	;; [unrolled: 1-line block ×3, first 2 shown]
	s_delay_alu instid0(VALU_DEP_2)
	v_mov_b32_e32 v2, v12
	ds_load_b64 v[4:5], v6 offset:14568
	v_mov_b32_e32 v3, v13
	s_wait_dscnt 0x0
	v_xor_b32_e32 v5, 0x80000000, v5
	ds_store_b64 v6, v[4:5] offset:14568
.LBB0_23:
	s_wait_alu 0xfffe
	s_or_b32 exec_lo, exec_lo, s0
	s_add_nc_u64 s[0:1], s[4:5], 0x7120
	s_wait_alu 0xfffe
	v_add_co_u32 v19, s0, s0, v8
	s_wait_alu 0xf1ff
	v_add_co_ci_u32_e64 v20, s0, s1, v9, s0
	s_wait_dscnt 0x0
	s_clause 0x1
	global_load_b128 v[4:7], v[19:20], off offset:2912
	global_load_b128 v[15:18], v[19:20], off offset:5824
	ds_store_2addr_b64 v248, v[10:11], v[12:13] offset1:1
	ds_store_b128 v14, v[0:3] offset:29120
	ds_load_b128 v[0:3], v248 offset:2912
	ds_load_b128 v[10:13], v14 offset:26208
	s_wait_dscnt 0x0
	v_add_f64_e64 v[21:22], v[0:1], -v[10:11]
	v_add_f64_e32 v[23:24], v[2:3], v[12:13]
	v_add_f64_e64 v[2:3], v[2:3], -v[12:13]
	v_add_f64_e32 v[0:1], v[0:1], v[10:11]
	s_delay_alu instid0(VALU_DEP_4) | instskip(NEXT) | instid1(VALU_DEP_4)
	v_mul_f64_e32 v[12:13], 0.5, v[21:22]
	v_mul_f64_e32 v[21:22], 0.5, v[23:24]
	s_delay_alu instid0(VALU_DEP_4) | instskip(SKIP_1) | instid1(VALU_DEP_3)
	v_mul_f64_e32 v[2:3], 0.5, v[2:3]
	s_wait_loadcnt 0x1
	v_mul_f64_e32 v[10:11], v[12:13], v[6:7]
	s_delay_alu instid0(VALU_DEP_2) | instskip(SKIP_1) | instid1(VALU_DEP_3)
	v_fma_f64 v[23:24], v[21:22], v[6:7], v[2:3]
	v_fma_f64 v[2:3], v[21:22], v[6:7], -v[2:3]
	v_fma_f64 v[6:7], v[0:1], 0.5, v[10:11]
	v_fma_f64 v[0:1], v[0:1], 0.5, -v[10:11]
	s_delay_alu instid0(VALU_DEP_4) | instskip(NEXT) | instid1(VALU_DEP_4)
	v_fma_f64 v[10:11], -v[4:5], v[12:13], v[23:24]
	v_fma_f64 v[2:3], -v[4:5], v[12:13], v[2:3]
	s_delay_alu instid0(VALU_DEP_4) | instskip(NEXT) | instid1(VALU_DEP_4)
	v_fma_f64 v[12:13], v[21:22], v[4:5], v[6:7]
	v_fma_f64 v[0:1], -v[21:22], v[4:5], v[0:1]
	global_load_b128 v[4:7], v[19:20], off offset:8736
	v_add_nc_u32_e32 v21, 0x800, v248
	ds_store_2addr_b64 v21, v[12:13], v[10:11] offset0:108 offset1:109
	ds_store_b128 v14, v[0:3] offset:26208
	ds_load_b128 v[0:3], v248 offset:5824
	ds_load_b128 v[10:13], v14 offset:23296
	s_wait_dscnt 0x0
	v_add_f64_e64 v[21:22], v[0:1], -v[10:11]
	v_add_f64_e32 v[23:24], v[2:3], v[12:13]
	v_add_f64_e64 v[2:3], v[2:3], -v[12:13]
	v_add_f64_e32 v[0:1], v[0:1], v[10:11]
	s_delay_alu instid0(VALU_DEP_4) | instskip(NEXT) | instid1(VALU_DEP_4)
	v_mul_f64_e32 v[12:13], 0.5, v[21:22]
	v_mul_f64_e32 v[21:22], 0.5, v[23:24]
	s_delay_alu instid0(VALU_DEP_4) | instskip(SKIP_1) | instid1(VALU_DEP_3)
	v_mul_f64_e32 v[2:3], 0.5, v[2:3]
	s_wait_loadcnt 0x1
	v_mul_f64_e32 v[10:11], v[12:13], v[17:18]
	s_delay_alu instid0(VALU_DEP_2) | instskip(SKIP_1) | instid1(VALU_DEP_3)
	v_fma_f64 v[23:24], v[21:22], v[17:18], v[2:3]
	v_fma_f64 v[2:3], v[21:22], v[17:18], -v[2:3]
	v_fma_f64 v[17:18], v[0:1], 0.5, v[10:11]
	v_fma_f64 v[0:1], v[0:1], 0.5, -v[10:11]
	s_delay_alu instid0(VALU_DEP_4) | instskip(NEXT) | instid1(VALU_DEP_4)
	v_fma_f64 v[23:24], -v[15:16], v[12:13], v[23:24]
	v_fma_f64 v[2:3], -v[15:16], v[12:13], v[2:3]
	global_load_b128 v[10:13], v[19:20], off offset:11648
	v_fma_f64 v[17:18], v[21:22], v[15:16], v[17:18]
	v_fma_f64 v[0:1], -v[21:22], v[15:16], v[0:1]
	v_add_nc_u32_e32 v15, 0x1000, v248
	ds_store_2addr_b64 v15, v[17:18], v[23:24] offset0:216 offset1:217
	ds_store_b128 v14, v[0:3] offset:23296
	ds_load_b128 v[0:3], v248 offset:8736
	ds_load_b128 v[15:18], v14 offset:20384
	s_wait_dscnt 0x0
	v_add_f64_e64 v[19:20], v[0:1], -v[15:16]
	v_add_f64_e32 v[21:22], v[2:3], v[17:18]
	v_add_f64_e64 v[2:3], v[2:3], -v[17:18]
	v_add_f64_e32 v[0:1], v[0:1], v[15:16]
	s_delay_alu instid0(VALU_DEP_4) | instskip(NEXT) | instid1(VALU_DEP_4)
	v_mul_f64_e32 v[17:18], 0.5, v[19:20]
	v_mul_f64_e32 v[19:20], 0.5, v[21:22]
	s_delay_alu instid0(VALU_DEP_4) | instskip(SKIP_1) | instid1(VALU_DEP_3)
	v_mul_f64_e32 v[2:3], 0.5, v[2:3]
	s_wait_loadcnt 0x1
	v_mul_f64_e32 v[15:16], v[17:18], v[6:7]
	s_delay_alu instid0(VALU_DEP_2) | instskip(SKIP_1) | instid1(VALU_DEP_3)
	v_fma_f64 v[21:22], v[19:20], v[6:7], v[2:3]
	v_fma_f64 v[2:3], v[19:20], v[6:7], -v[2:3]
	v_fma_f64 v[6:7], v[0:1], 0.5, v[15:16]
	v_fma_f64 v[0:1], v[0:1], 0.5, -v[15:16]
	s_delay_alu instid0(VALU_DEP_4) | instskip(NEXT) | instid1(VALU_DEP_4)
	v_fma_f64 v[15:16], -v[4:5], v[17:18], v[21:22]
	v_fma_f64 v[2:3], -v[4:5], v[17:18], v[2:3]
	s_delay_alu instid0(VALU_DEP_4) | instskip(NEXT) | instid1(VALU_DEP_4)
	v_fma_f64 v[6:7], v[19:20], v[4:5], v[6:7]
	v_fma_f64 v[0:1], -v[19:20], v[4:5], v[0:1]
	v_add_nc_u32_e32 v4, 0x2000, v248
	ds_store_2addr_b64 v4, v[6:7], v[15:16] offset0:68 offset1:69
	ds_store_b128 v14, v[0:3] offset:20384
	ds_load_b128 v[0:3], v248 offset:11648
	ds_load_b128 v[4:7], v14 offset:17472
	s_wait_dscnt 0x0
	v_add_f64_e64 v[15:16], v[0:1], -v[4:5]
	v_add_f64_e32 v[17:18], v[2:3], v[6:7]
	v_add_f64_e64 v[2:3], v[2:3], -v[6:7]
	v_add_f64_e32 v[0:1], v[0:1], v[4:5]
	s_delay_alu instid0(VALU_DEP_4) | instskip(NEXT) | instid1(VALU_DEP_4)
	v_mul_f64_e32 v[6:7], 0.5, v[15:16]
	v_mul_f64_e32 v[15:16], 0.5, v[17:18]
	s_delay_alu instid0(VALU_DEP_4) | instskip(SKIP_1) | instid1(VALU_DEP_3)
	v_mul_f64_e32 v[2:3], 0.5, v[2:3]
	s_wait_loadcnt 0x0
	v_mul_f64_e32 v[4:5], v[6:7], v[12:13]
	s_delay_alu instid0(VALU_DEP_2) | instskip(SKIP_1) | instid1(VALU_DEP_3)
	v_fma_f64 v[17:18], v[15:16], v[12:13], v[2:3]
	v_fma_f64 v[2:3], v[15:16], v[12:13], -v[2:3]
	v_fma_f64 v[12:13], v[0:1], 0.5, v[4:5]
	v_fma_f64 v[0:1], v[0:1], 0.5, -v[4:5]
	s_delay_alu instid0(VALU_DEP_4) | instskip(NEXT) | instid1(VALU_DEP_4)
	v_fma_f64 v[4:5], -v[10:11], v[6:7], v[17:18]
	v_fma_f64 v[2:3], -v[10:11], v[6:7], v[2:3]
	s_delay_alu instid0(VALU_DEP_4) | instskip(NEXT) | instid1(VALU_DEP_4)
	v_fma_f64 v[6:7], v[15:16], v[10:11], v[12:13]
	v_fma_f64 v[0:1], -v[15:16], v[10:11], v[0:1]
	v_add_nc_u32_e32 v10, 0x2800, v248
	ds_store_2addr_b64 v10, v[6:7], v[4:5] offset0:176 offset1:177
	ds_store_b128 v14, v[0:3] offset:17472
	global_wb scope:SCOPE_SE
	s_wait_dscnt 0x0
	s_barrier_signal -1
	s_barrier_wait -1
	global_inv scope:SCOPE_SE
	s_and_saveexec_b32 s0, vcc_lo
	s_cbranch_execz .LBB0_26
; %bb.24:
	ds_load_b128 v[2:5], v248
	ds_load_b128 v[10:13], v248 offset:2912
	ds_load_b128 v[14:17], v248 offset:5824
	;; [unrolled: 1-line block ×5, first 2 shown]
	scratch_load_b64 v[0:1], off, off th:TH_LOAD_LU ; 8-byte Folded Reload
	ds_load_b128 v[30:33], v248 offset:17472
	ds_load_b128 v[34:37], v248 offset:20384
	;; [unrolled: 1-line block ×4, first 2 shown]
	s_wait_loadcnt 0x0
	v_add_co_u32 v0, vcc_lo, s8, v0
	s_wait_alu 0xfffd
	v_add_co_ci_u32_e32 v1, vcc_lo, s9, v1, vcc_lo
	s_delay_alu instid0(VALU_DEP_2) | instskip(SKIP_1) | instid1(VALU_DEP_2)
	v_add_co_u32 v6, vcc_lo, v0, v8
	s_wait_alu 0xfffd
	v_add_co_ci_u32_e32 v7, vcc_lo, v1, v9, vcc_lo
	v_cmp_eq_u32_e32 vcc_lo, 0xb5, v68
	s_wait_dscnt 0x9
	global_store_b128 v[6:7], v[2:5], off
	s_wait_dscnt 0x8
	global_store_b128 v[6:7], v[10:13], off offset:2912
	s_wait_dscnt 0x7
	global_store_b128 v[6:7], v[14:17], off offset:5824
	;; [unrolled: 2-line block ×9, first 2 shown]
	s_and_b32 exec_lo, exec_lo, vcc_lo
	s_cbranch_execz .LBB0_26
; %bb.25:
	v_mov_b32_e32 v2, 0
	ds_load_b128 v[2:5], v2 offset:29120
	s_wait_dscnt 0x0
	global_store_b128 v[0:1], v[2:5], off offset:29120
.LBB0_26:
	s_nop 0
	s_sendmsg sendmsg(MSG_DEALLOC_VGPRS)
	s_endpgm
	.section	.rodata,"a",@progbits
	.p2align	6, 0x0
	.amdhsa_kernel fft_rtc_fwd_len1820_factors_10_13_7_2_wgs_182_tpt_182_halfLds_dp_ip_CI_unitstride_sbrr_R2C_dirReg
		.amdhsa_group_segment_fixed_size 0
		.amdhsa_private_segment_fixed_size 28
		.amdhsa_kernarg_size 88
		.amdhsa_user_sgpr_count 2
		.amdhsa_user_sgpr_dispatch_ptr 0
		.amdhsa_user_sgpr_queue_ptr 0
		.amdhsa_user_sgpr_kernarg_segment_ptr 1
		.amdhsa_user_sgpr_dispatch_id 0
		.amdhsa_user_sgpr_private_segment_size 0
		.amdhsa_wavefront_size32 1
		.amdhsa_uses_dynamic_stack 0
		.amdhsa_enable_private_segment 1
		.amdhsa_system_sgpr_workgroup_id_x 1
		.amdhsa_system_sgpr_workgroup_id_y 0
		.amdhsa_system_sgpr_workgroup_id_z 0
		.amdhsa_system_sgpr_workgroup_info 0
		.amdhsa_system_vgpr_workitem_id 0
		.amdhsa_next_free_vgpr 256
		.amdhsa_next_free_sgpr 32
		.amdhsa_reserve_vcc 1
		.amdhsa_float_round_mode_32 0
		.amdhsa_float_round_mode_16_64 0
		.amdhsa_float_denorm_mode_32 3
		.amdhsa_float_denorm_mode_16_64 3
		.amdhsa_fp16_overflow 0
		.amdhsa_workgroup_processor_mode 1
		.amdhsa_memory_ordered 1
		.amdhsa_forward_progress 0
		.amdhsa_round_robin_scheduling 0
		.amdhsa_exception_fp_ieee_invalid_op 0
		.amdhsa_exception_fp_denorm_src 0
		.amdhsa_exception_fp_ieee_div_zero 0
		.amdhsa_exception_fp_ieee_overflow 0
		.amdhsa_exception_fp_ieee_underflow 0
		.amdhsa_exception_fp_ieee_inexact 0
		.amdhsa_exception_int_div_zero 0
	.end_amdhsa_kernel
	.text
.Lfunc_end0:
	.size	fft_rtc_fwd_len1820_factors_10_13_7_2_wgs_182_tpt_182_halfLds_dp_ip_CI_unitstride_sbrr_R2C_dirReg, .Lfunc_end0-fft_rtc_fwd_len1820_factors_10_13_7_2_wgs_182_tpt_182_halfLds_dp_ip_CI_unitstride_sbrr_R2C_dirReg
                                        ; -- End function
	.section	.AMDGPU.csdata,"",@progbits
; Kernel info:
; codeLenInByte = 11040
; NumSgprs: 34
; NumVgprs: 256
; ScratchSize: 28
; MemoryBound: 0
; FloatMode: 240
; IeeeMode: 1
; LDSByteSize: 0 bytes/workgroup (compile time only)
; SGPRBlocks: 4
; VGPRBlocks: 31
; NumSGPRsForWavesPerEU: 34
; NumVGPRsForWavesPerEU: 256
; Occupancy: 5
; WaveLimiterHint : 1
; COMPUTE_PGM_RSRC2:SCRATCH_EN: 1
; COMPUTE_PGM_RSRC2:USER_SGPR: 2
; COMPUTE_PGM_RSRC2:TRAP_HANDLER: 0
; COMPUTE_PGM_RSRC2:TGID_X_EN: 1
; COMPUTE_PGM_RSRC2:TGID_Y_EN: 0
; COMPUTE_PGM_RSRC2:TGID_Z_EN: 0
; COMPUTE_PGM_RSRC2:TIDIG_COMP_CNT: 0
	.text
	.p2alignl 7, 3214868480
	.fill 96, 4, 3214868480
	.type	__hip_cuid_16fae499009ef1fa,@object ; @__hip_cuid_16fae499009ef1fa
	.section	.bss,"aw",@nobits
	.globl	__hip_cuid_16fae499009ef1fa
__hip_cuid_16fae499009ef1fa:
	.byte	0                               ; 0x0
	.size	__hip_cuid_16fae499009ef1fa, 1

	.ident	"AMD clang version 19.0.0git (https://github.com/RadeonOpenCompute/llvm-project roc-6.4.0 25133 c7fe45cf4b819c5991fe208aaa96edf142730f1d)"
	.section	".note.GNU-stack","",@progbits
	.addrsig
	.addrsig_sym __hip_cuid_16fae499009ef1fa
	.amdgpu_metadata
---
amdhsa.kernels:
  - .args:
      - .actual_access:  read_only
        .address_space:  global
        .offset:         0
        .size:           8
        .value_kind:     global_buffer
      - .offset:         8
        .size:           8
        .value_kind:     by_value
      - .actual_access:  read_only
        .address_space:  global
        .offset:         16
        .size:           8
        .value_kind:     global_buffer
      - .actual_access:  read_only
        .address_space:  global
        .offset:         24
        .size:           8
        .value_kind:     global_buffer
      - .offset:         32
        .size:           8
        .value_kind:     by_value
      - .actual_access:  read_only
        .address_space:  global
        .offset:         40
        .size:           8
        .value_kind:     global_buffer
      - .actual_access:  read_only
        .address_space:  global
        .offset:         48
        .size:           8
        .value_kind:     global_buffer
      - .offset:         56
        .size:           4
        .value_kind:     by_value
      - .actual_access:  read_only
        .address_space:  global
        .offset:         64
        .size:           8
        .value_kind:     global_buffer
      - .actual_access:  read_only
        .address_space:  global
        .offset:         72
        .size:           8
        .value_kind:     global_buffer
      - .address_space:  global
        .offset:         80
        .size:           8
        .value_kind:     global_buffer
    .group_segment_fixed_size: 0
    .kernarg_segment_align: 8
    .kernarg_segment_size: 88
    .language:       OpenCL C
    .language_version:
      - 2
      - 0
    .max_flat_workgroup_size: 182
    .name:           fft_rtc_fwd_len1820_factors_10_13_7_2_wgs_182_tpt_182_halfLds_dp_ip_CI_unitstride_sbrr_R2C_dirReg
    .private_segment_fixed_size: 28
    .sgpr_count:     34
    .sgpr_spill_count: 0
    .symbol:         fft_rtc_fwd_len1820_factors_10_13_7_2_wgs_182_tpt_182_halfLds_dp_ip_CI_unitstride_sbrr_R2C_dirReg.kd
    .uniform_work_group_size: 1
    .uses_dynamic_stack: false
    .vgpr_count:     256
    .vgpr_spill_count: 6
    .wavefront_size: 32
    .workgroup_processor_mode: 1
amdhsa.target:   amdgcn-amd-amdhsa--gfx1201
amdhsa.version:
  - 1
  - 2
...

	.end_amdgpu_metadata
